;; amdgpu-corpus repo=UoB-HPC/miniBUDE kind=compiled arch=gfx90a opt=O3
	.text
	.amdgcn_target "amdgcn-amd-amdhsa--gfx90a"
	.amdhsa_code_object_version 6
	.section	.text._ZL11fasten_mainILm1EEviiPK4AtomS2_PKfS4_S4_S4_S4_S4_PfPK8FFParamsi,"axG",@progbits,_ZL11fasten_mainILm1EEviiPK4AtomS2_PKfS4_S4_S4_S4_S4_PfPK8FFParamsi,comdat
	.globl	_ZL11fasten_mainILm1EEviiPK4AtomS2_PKfS4_S4_S4_S4_S4_PfPK8FFParamsi ; -- Begin function _ZL11fasten_mainILm1EEviiPK4AtomS2_PKfS4_S4_S4_S4_S4_PfPK8FFParamsi
	.p2align	8
	.type	_ZL11fasten_mainILm1EEviiPK4AtomS2_PKfS4_S4_S4_S4_S4_PfPK8FFParamsi,@function
_ZL11fasten_mainILm1EEviiPK4AtomS2_PKfS4_S4_S4_S4_S4_PfPK8FFParamsi: ; @_ZL11fasten_mainILm1EEviiPK4AtomS2_PKfS4_S4_S4_S4_S4_PfPK8FFParamsi
; %bb.0:
	s_load_dword s0, s[4:5], 0x6c
	s_load_dword s1, s[4:5], 0x58
	s_load_dwordx16 s[36:51], s[4:5], 0x8
	s_brev_b32 s2, 18
                                        ; implicit-def: $vgpr5
                                        ; implicit-def: $vgpr6
	s_waitcnt lgkmcnt(0)
	s_and_b32 s0, s0, 0xffff
	s_mul_i32 s6, s6, s0
	v_add_u32_e32 v4, s6, v0
	s_add_i32 s0, s1, -1
	v_mov_b32_e32 v0, s0
	v_cmp_gt_i32_e64 s[0:1], s1, v4
	v_cndmask_b32_e64 v0, v0, v4, s[0:1]
	v_ashrrev_i32_e32 v1, 31, v0
	v_lshlrev_b64 v[0:1], 2, v[0:1]
	v_mov_b32_e32 v3, s41
	v_add_co_u32_e32 v2, vcc, s40, v0
	v_addc_co_u32_e32 v3, vcc, v3, v1, vcc
	global_load_dword v2, v[2:3], off
	s_waitcnt vmcnt(0)
	v_and_b32_e32 v3, 0x7fffffff, v2
	v_cmp_nlt_f32_e64 s[10:11], |v2|, s2
	v_lshrrev_b32_e32 v9, 23, v3
	s_and_saveexec_b64 s[2:3], s[10:11]
	s_xor_b64 s[12:13], exec, s[2:3]
	s_cbranch_execz .LBB0_2
; %bb.1:
	v_add_u32_e32 v5, 0xffffff88, v9
	v_not_b32_e32 v6, 63
	v_cmp_lt_u32_e32 vcc, 63, v5
	v_cndmask_b32_e32 v6, 0, v6, vcc
	v_add_u32_e32 v5, v6, v5
	v_not_b32_e32 v6, 31
	v_cmp_lt_u32_e64 s[2:3], 31, v5
	v_cndmask_b32_e64 v8, 0, v6, s[2:3]
	v_add_u32_e32 v5, v8, v5
	v_cmp_lt_u32_e64 s[6:7], 31, v5
	v_cndmask_b32_e64 v6, 0, v6, s[6:7]
	v_add_u32_e32 v5, v6, v5
	v_and_b32_e32 v6, 0x7fffff, v3
	v_or_b32_e32 v8, 0x800000, v6
	s_mov_b32 s8, 0xfe5163ab
	v_mad_u64_u32 v[10:11], s[8:9], v8, s8, 0
	v_mov_b32_e32 v7, 0
	v_mov_b32_e32 v6, v11
	s_mov_b32 s8, 0x3c439041
	v_mad_u64_u32 v[12:13], s[8:9], v8, s8, v[6:7]
	v_mov_b32_e32 v6, v13
	s_mov_b32 s8, 0xdb629599
	v_mad_u64_u32 v[14:15], s[8:9], v8, s8, v[6:7]
	;; [unrolled: 3-line block ×6, first 2 shown]
	v_cndmask_b32_e32 v11, v20, v16, vcc
	v_cndmask_b32_e32 v6, v6, v18, vcc
	;; [unrolled: 1-line block ×3, first 2 shown]
	v_cndmask_b32_e64 v8, v6, v11, s[2:3]
	v_cndmask_b32_e64 v6, v7, v6, s[2:3]
	v_cndmask_b32_e32 v7, v18, v14, vcc
	v_cndmask_b32_e64 v11, v11, v7, s[2:3]
	v_cndmask_b32_e64 v6, v6, v8, s[6:7]
	;; [unrolled: 1-line block ×3, first 2 shown]
	v_sub_u32_e32 v13, 32, v5
	v_alignbit_b32 v15, v6, v8, v13
	v_cmp_eq_u32_e64 s[8:9], 0, v5
	v_cndmask_b32_e64 v5, v15, v6, s[8:9]
	v_cndmask_b32_e32 v6, v16, v12, vcc
	v_cndmask_b32_e64 v7, v7, v6, s[2:3]
	v_cndmask_b32_e64 v11, v11, v7, s[6:7]
	v_alignbit_b32 v12, v8, v11, v13
	v_cndmask_b32_e64 v8, v12, v8, s[8:9]
	v_bfe_u32 v16, v5, 29, 1
	v_cndmask_b32_e32 v10, v14, v10, vcc
	v_alignbit_b32 v12, v5, v8, 30
	v_sub_u32_e32 v17, 0, v16
	v_cndmask_b32_e64 v6, v6, v10, s[2:3]
	v_xor_b32_e32 v18, v12, v17
	v_cndmask_b32_e64 v6, v7, v6, s[6:7]
	v_alignbit_b32 v7, v11, v6, v13
	v_ffbh_u32_e32 v10, v18
	v_cndmask_b32_e64 v7, v7, v11, s[8:9]
	v_add_u32_e32 v10, 1, v10
	v_cmp_ne_u32_e32 vcc, v12, v17
	v_alignbit_b32 v8, v8, v7, 30
	v_cndmask_b32_e32 v10, 33, v10, vcc
	v_alignbit_b32 v6, v7, v6, 30
	v_xor_b32_e32 v8, v8, v17
	v_sub_u32_e32 v11, 32, v10
	v_xor_b32_e32 v6, v6, v17
	v_alignbit_b32 v12, v18, v8, v11
	v_alignbit_b32 v6, v8, v6, v11
	;; [unrolled: 1-line block ×3, first 2 shown]
	v_ffbh_u32_e32 v8, v7
	v_min_u32_e32 v8, 32, v8
	v_lshrrev_b32_e32 v15, 29, v5
	v_sub_u32_e32 v11, 31, v8
	v_alignbit_b32 v6, v7, v6, v11
	v_lshlrev_b32_e32 v7, 31, v15
	v_or_b32_e32 v11, 0x33800000, v7
	v_add_lshl_u32 v8, v8, v10, 23
	v_lshrrev_b32_e32 v6, 9, v6
	v_sub_u32_e32 v8, v11, v8
	v_or_b32_e32 v6, v8, v6
	v_alignbit_b32 v8, v10, v12, 9
	v_or_b32_e32 v7, v8, v7
	v_xor_b32_e32 v7, 1.0, v7
	s_mov_b32 s2, 0x3fc90fda
	v_mul_f32_e32 v8, 0x3fc90fda, v7
	v_fma_f32 v10, v7, s2, -v8
	v_fmac_f32_e32 v10, 0x33a22168, v7
	v_fmac_f32_e32 v10, 0x3fc90fda, v6
	v_lshrrev_b32_e32 v5, 30, v5
	v_add_f32_e32 v6, v8, v10
	v_add_u32_e32 v5, v16, v5
	s_andn2_saveexec_b64 s[2:3], s[12:13]
	s_branch .LBB0_3
.LBB0_2:
	s_andn2_saveexec_b64 s[2:3], s[12:13]
.LBB0_3:
	s_mov_b32 s6, 0x3f22f983
	v_mul_f32_e64 v5, |v2|, s6
	v_rndne_f32_e32 v7, v5
	s_mov_b32 s6, 0xbfc90fda
	v_cvt_i32_f32_e32 v5, v7
	v_fma_f32 v6, v7, s6, |v2|
	v_fmac_f32_e32 v6, 0xb3a22168, v7
	v_fmac_f32_e32 v6, 0xa7c234c4, v7
; %bb.4:
	s_or_b64 exec, exec, s[2:3]
                                        ; implicit-def: $vgpr7
                                        ; implicit-def: $vgpr8
	s_and_saveexec_b64 s[2:3], s[10:11]
	s_xor_b64 s[10:11], exec, s[2:3]
	s_cbranch_execz .LBB0_6
; %bb.5:
	v_add_u32_e32 v7, 0xffffff88, v9
	v_not_b32_e32 v8, 63
	v_cmp_lt_u32_e32 vcc, 63, v7
	v_cndmask_b32_e32 v8, 0, v8, vcc
	v_add_u32_e32 v7, v8, v7
	v_not_b32_e32 v8, 31
	v_cmp_lt_u32_e64 s[2:3], 31, v7
	v_cndmask_b32_e64 v10, 0, v8, s[2:3]
	v_add_u32_e32 v7, v10, v7
	v_cmp_lt_u32_e64 s[6:7], 31, v7
	v_cndmask_b32_e64 v8, 0, v8, s[6:7]
	v_add_u32_e32 v7, v8, v7
	v_and_b32_e32 v8, 0x7fffff, v3
	v_or_b32_e32 v22, 0x800000, v8
	s_mov_b32 s8, 0xfe5163ab
	v_mad_u64_u32 v[10:11], s[8:9], v22, s8, 0
	v_mov_b32_e32 v9, 0
	v_mov_b32_e32 v8, v11
	s_mov_b32 s8, 0x3c439041
	v_mad_u64_u32 v[12:13], s[8:9], v22, s8, v[8:9]
	v_mov_b32_e32 v8, v13
	s_mov_b32 s8, 0xdb629599
	v_mad_u64_u32 v[14:15], s[8:9], v22, s8, v[8:9]
	;; [unrolled: 3-line block ×6, first 2 shown]
	v_cndmask_b32_e32 v11, v20, v16, vcc
	v_cndmask_b32_e32 v8, v8, v18, vcc
	;; [unrolled: 1-line block ×3, first 2 shown]
	v_cndmask_b32_e64 v13, v8, v11, s[2:3]
	v_cndmask_b32_e64 v8, v9, v8, s[2:3]
	v_cndmask_b32_e32 v9, v18, v14, vcc
	v_cndmask_b32_e64 v11, v11, v9, s[2:3]
	v_cndmask_b32_e64 v8, v8, v13, s[6:7]
	;; [unrolled: 1-line block ×3, first 2 shown]
	v_sub_u32_e32 v15, 32, v7
	v_alignbit_b32 v17, v8, v13, v15
	v_cmp_eq_u32_e64 s[8:9], 0, v7
	v_cndmask_b32_e64 v7, v17, v8, s[8:9]
	v_cndmask_b32_e32 v8, v16, v12, vcc
	v_cndmask_b32_e64 v9, v9, v8, s[2:3]
	v_cndmask_b32_e64 v11, v11, v9, s[6:7]
	v_alignbit_b32 v12, v13, v11, v15
	v_cndmask_b32_e32 v10, v14, v10, vcc
	v_cndmask_b32_e64 v12, v12, v13, s[8:9]
	v_bfe_u32 v17, v7, 29, 1
	v_cndmask_b32_e64 v8, v8, v10, s[2:3]
	v_alignbit_b32 v13, v7, v12, 30
	v_sub_u32_e32 v18, 0, v17
	v_cndmask_b32_e64 v8, v9, v8, s[6:7]
	v_xor_b32_e32 v19, v13, v18
	v_alignbit_b32 v9, v11, v8, v15
	v_cndmask_b32_e64 v9, v9, v11, s[8:9]
	v_ffbh_u32_e32 v11, v19
	v_add_u32_e32 v11, 1, v11
	v_cmp_ne_u32_e32 vcc, v13, v18
	v_alignbit_b32 v10, v12, v9, 30
	v_cndmask_b32_e32 v11, 33, v11, vcc
	v_alignbit_b32 v8, v9, v8, 30
	v_xor_b32_e32 v10, v10, v18
	v_sub_u32_e32 v12, 32, v11
	v_xor_b32_e32 v8, v8, v18
	v_alignbit_b32 v13, v19, v10, v12
	v_alignbit_b32 v8, v10, v8, v12
	;; [unrolled: 1-line block ×3, first 2 shown]
	v_ffbh_u32_e32 v10, v9
	v_min_u32_e32 v10, 32, v10
	v_lshrrev_b32_e32 v16, 29, v7
	v_sub_u32_e32 v12, 31, v10
	v_alignbit_b32 v8, v9, v8, v12
	v_lshlrev_b32_e32 v9, 31, v16
	v_or_b32_e32 v12, 0x33800000, v9
	v_add_lshl_u32 v10, v10, v11, 23
	v_lshrrev_b32_e32 v8, 9, v8
	v_sub_u32_e32 v10, v12, v10
	v_or_b32_e32 v8, v10, v8
	v_alignbit_b32 v10, v11, v13, 9
	v_or_b32_e32 v9, v10, v9
	v_xor_b32_e32 v9, 1.0, v9
	s_mov_b32 s2, 0x3fc90fda
	v_mul_f32_e32 v10, 0x3fc90fda, v9
	v_fma_f32 v11, v9, s2, -v10
	v_fmac_f32_e32 v11, 0x33a22168, v9
	v_fmac_f32_e32 v11, 0x3fc90fda, v8
	v_lshrrev_b32_e32 v7, 30, v7
	v_add_f32_e32 v8, v10, v11
	v_add_u32_e32 v7, v17, v7
	s_andn2_saveexec_b64 s[2:3], s[10:11]
	s_cbranch_execnz .LBB0_7
	s_branch .LBB0_8
.LBB0_6:
	s_andn2_saveexec_b64 s[2:3], s[10:11]
.LBB0_7:
	s_mov_b32 s6, 0x3f22f983
	v_mul_f32_e64 v7, |v2|, s6
	v_rndne_f32_e32 v9, v7
	s_mov_b32 s6, 0xbfc90fda
	v_cvt_i32_f32_e32 v7, v9
	v_fma_f32 v8, v9, s6, |v2|
	v_fmac_f32_e32 v8, 0xb3a22168, v9
	v_fmac_f32_e32 v8, 0xa7c234c4, v9
.LBB0_8:
	s_or_b64 exec, exec, s[2:3]
	v_mov_b32_e32 v9, s43
	v_add_co_u32_e32 v10, vcc, s42, v0
	v_addc_co_u32_e32 v11, vcc, v9, v1, vcc
	global_load_dword v9, v[10:11], off
	s_brev_b32 s2, 18
                                        ; implicit-def: $vgpr11
                                        ; implicit-def: $vgpr12
	s_waitcnt vmcnt(0)
	v_and_b32_e32 v10, 0x7fffffff, v9
	v_cmp_nlt_f32_e64 s[10:11], |v9|, s2
	v_lshrrev_b32_e32 v15, 23, v10
	s_and_saveexec_b64 s[2:3], s[10:11]
	s_xor_b64 s[12:13], exec, s[2:3]
	s_cbranch_execz .LBB0_10
; %bb.9:
	v_add_u32_e32 v11, 0xffffff88, v15
	v_not_b32_e32 v12, 63
	v_cmp_lt_u32_e32 vcc, 63, v11
	v_cndmask_b32_e32 v12, 0, v12, vcc
	v_add_u32_e32 v11, v12, v11
	v_not_b32_e32 v12, 31
	v_cmp_lt_u32_e64 s[2:3], 31, v11
	v_cndmask_b32_e64 v14, 0, v12, s[2:3]
	v_add_u32_e32 v11, v14, v11
	v_cmp_lt_u32_e64 s[6:7], 31, v11
	v_cndmask_b32_e64 v12, 0, v12, s[6:7]
	v_add_u32_e32 v11, v12, v11
	v_and_b32_e32 v12, 0x7fffff, v10
	v_or_b32_e32 v14, 0x800000, v12
	s_mov_b32 s8, 0xfe5163ab
	v_mad_u64_u32 v[16:17], s[8:9], v14, s8, 0
	v_mov_b32_e32 v13, 0
	v_mov_b32_e32 v12, v17
	s_mov_b32 s8, 0x3c439041
	v_mad_u64_u32 v[18:19], s[8:9], v14, s8, v[12:13]
	v_mov_b32_e32 v12, v19
	s_mov_b32 s8, 0xdb629599
	v_mad_u64_u32 v[20:21], s[8:9], v14, s8, v[12:13]
	;; [unrolled: 3-line block ×6, first 2 shown]
	v_cndmask_b32_e32 v17, v26, v22, vcc
	v_cndmask_b32_e32 v12, v12, v24, vcc
	;; [unrolled: 1-line block ×3, first 2 shown]
	v_cndmask_b32_e64 v14, v12, v17, s[2:3]
	v_cndmask_b32_e64 v12, v13, v12, s[2:3]
	v_cndmask_b32_e32 v13, v24, v20, vcc
	v_cndmask_b32_e64 v17, v17, v13, s[2:3]
	v_cndmask_b32_e64 v12, v12, v14, s[6:7]
	v_cndmask_b32_e64 v14, v14, v17, s[6:7]
	v_sub_u32_e32 v19, 32, v11
	v_alignbit_b32 v21, v12, v14, v19
	v_cmp_eq_u32_e64 s[8:9], 0, v11
	v_cndmask_b32_e64 v11, v21, v12, s[8:9]
	v_cndmask_b32_e32 v12, v22, v18, vcc
	v_cndmask_b32_e64 v13, v13, v12, s[2:3]
	v_cndmask_b32_e64 v17, v17, v13, s[6:7]
	v_alignbit_b32 v18, v14, v17, v19
	v_cndmask_b32_e64 v14, v18, v14, s[8:9]
	v_bfe_u32 v22, v11, 29, 1
	v_cndmask_b32_e32 v16, v20, v16, vcc
	v_alignbit_b32 v18, v11, v14, 30
	v_sub_u32_e32 v23, 0, v22
	v_cndmask_b32_e64 v12, v12, v16, s[2:3]
	v_xor_b32_e32 v24, v18, v23
	v_cndmask_b32_e64 v12, v13, v12, s[6:7]
	v_alignbit_b32 v13, v17, v12, v19
	v_ffbh_u32_e32 v16, v24
	v_cndmask_b32_e64 v13, v13, v17, s[8:9]
	v_add_u32_e32 v16, 1, v16
	v_cmp_ne_u32_e32 vcc, v18, v23
	v_alignbit_b32 v14, v14, v13, 30
	v_cndmask_b32_e32 v16, 33, v16, vcc
	v_alignbit_b32 v12, v13, v12, 30
	v_xor_b32_e32 v14, v14, v23
	v_sub_u32_e32 v17, 32, v16
	v_xor_b32_e32 v12, v12, v23
	v_alignbit_b32 v18, v24, v14, v17
	v_alignbit_b32 v12, v14, v12, v17
	;; [unrolled: 1-line block ×3, first 2 shown]
	v_ffbh_u32_e32 v14, v13
	v_min_u32_e32 v14, 32, v14
	v_lshrrev_b32_e32 v21, 29, v11
	v_sub_u32_e32 v17, 31, v14
	v_alignbit_b32 v12, v13, v12, v17
	v_lshlrev_b32_e32 v13, 31, v21
	v_or_b32_e32 v17, 0x33800000, v13
	v_add_lshl_u32 v14, v14, v16, 23
	v_lshrrev_b32_e32 v12, 9, v12
	v_sub_u32_e32 v14, v17, v14
	v_or_b32_e32 v12, v14, v12
	v_alignbit_b32 v14, v16, v18, 9
	v_or_b32_e32 v13, v14, v13
	v_xor_b32_e32 v13, 1.0, v13
	s_mov_b32 s2, 0x3fc90fda
	v_mul_f32_e32 v14, 0x3fc90fda, v13
	v_fma_f32 v16, v13, s2, -v14
	v_fmac_f32_e32 v16, 0x33a22168, v13
	v_fmac_f32_e32 v16, 0x3fc90fda, v12
	v_lshrrev_b32_e32 v11, 30, v11
	v_add_f32_e32 v12, v14, v16
	v_add_u32_e32 v11, v22, v11
	s_andn2_saveexec_b64 s[2:3], s[12:13]
	s_branch .LBB0_11
.LBB0_10:
	s_andn2_saveexec_b64 s[2:3], s[12:13]
.LBB0_11:
	s_mov_b32 s6, 0x3f22f983
	v_mul_f32_e64 v11, |v9|, s6
	v_rndne_f32_e32 v13, v11
	s_mov_b32 s6, 0xbfc90fda
	v_cvt_i32_f32_e32 v11, v13
	v_fma_f32 v12, v13, s6, |v9|
	v_fmac_f32_e32 v12, 0xb3a22168, v13
	v_fmac_f32_e32 v12, 0xa7c234c4, v13
; %bb.12:
	s_or_b64 exec, exec, s[2:3]
                                        ; implicit-def: $vgpr13
                                        ; implicit-def: $vgpr14
	s_and_saveexec_b64 s[2:3], s[10:11]
	s_xor_b64 s[10:11], exec, s[2:3]
	s_cbranch_execz .LBB0_14
; %bb.13:
	v_add_u32_e32 v13, 0xffffff88, v15
	v_not_b32_e32 v14, 63
	v_cmp_lt_u32_e32 vcc, 63, v13
	v_cndmask_b32_e32 v14, 0, v14, vcc
	v_add_u32_e32 v13, v14, v13
	v_not_b32_e32 v14, 31
	v_cmp_lt_u32_e64 s[2:3], 31, v13
	v_cndmask_b32_e64 v16, 0, v14, s[2:3]
	v_add_u32_e32 v13, v16, v13
	v_cmp_lt_u32_e64 s[6:7], 31, v13
	v_cndmask_b32_e64 v14, 0, v14, s[6:7]
	v_add_u32_e32 v13, v14, v13
	v_and_b32_e32 v14, 0x7fffff, v10
	v_or_b32_e32 v28, 0x800000, v14
	s_mov_b32 s8, 0xfe5163ab
	v_mad_u64_u32 v[16:17], s[8:9], v28, s8, 0
	v_mov_b32_e32 v15, 0
	v_mov_b32_e32 v14, v17
	s_mov_b32 s8, 0x3c439041
	v_mad_u64_u32 v[18:19], s[8:9], v28, s8, v[14:15]
	v_mov_b32_e32 v14, v19
	s_mov_b32 s8, 0xdb629599
	v_mad_u64_u32 v[20:21], s[8:9], v28, s8, v[14:15]
	;; [unrolled: 3-line block ×6, first 2 shown]
	v_cndmask_b32_e32 v17, v26, v22, vcc
	v_cndmask_b32_e32 v14, v14, v24, vcc
	v_cndmask_b32_e32 v15, v15, v26, vcc
	v_cndmask_b32_e64 v19, v14, v17, s[2:3]
	v_cndmask_b32_e64 v14, v15, v14, s[2:3]
	v_cndmask_b32_e32 v15, v24, v20, vcc
	v_cndmask_b32_e64 v17, v17, v15, s[2:3]
	v_cndmask_b32_e64 v14, v14, v19, s[6:7]
	;; [unrolled: 1-line block ×3, first 2 shown]
	v_sub_u32_e32 v21, 32, v13
	v_alignbit_b32 v23, v14, v19, v21
	v_cmp_eq_u32_e64 s[8:9], 0, v13
	v_cndmask_b32_e64 v13, v23, v14, s[8:9]
	v_cndmask_b32_e32 v14, v22, v18, vcc
	v_cndmask_b32_e64 v15, v15, v14, s[2:3]
	v_cndmask_b32_e64 v17, v17, v15, s[6:7]
	v_alignbit_b32 v18, v19, v17, v21
	v_cndmask_b32_e32 v16, v20, v16, vcc
	v_cndmask_b32_e64 v18, v18, v19, s[8:9]
	v_bfe_u32 v23, v13, 29, 1
	v_cndmask_b32_e64 v14, v14, v16, s[2:3]
	v_alignbit_b32 v19, v13, v18, 30
	v_sub_u32_e32 v24, 0, v23
	v_cndmask_b32_e64 v14, v15, v14, s[6:7]
	v_xor_b32_e32 v25, v19, v24
	v_alignbit_b32 v15, v17, v14, v21
	v_cndmask_b32_e64 v15, v15, v17, s[8:9]
	v_ffbh_u32_e32 v17, v25
	v_add_u32_e32 v17, 1, v17
	v_cmp_ne_u32_e32 vcc, v19, v24
	v_alignbit_b32 v16, v18, v15, 30
	v_cndmask_b32_e32 v17, 33, v17, vcc
	v_alignbit_b32 v14, v15, v14, 30
	v_xor_b32_e32 v16, v16, v24
	v_sub_u32_e32 v18, 32, v17
	v_xor_b32_e32 v14, v14, v24
	v_alignbit_b32 v19, v25, v16, v18
	v_alignbit_b32 v14, v16, v14, v18
	;; [unrolled: 1-line block ×3, first 2 shown]
	v_ffbh_u32_e32 v16, v15
	v_min_u32_e32 v16, 32, v16
	v_lshrrev_b32_e32 v22, 29, v13
	v_sub_u32_e32 v18, 31, v16
	v_alignbit_b32 v14, v15, v14, v18
	v_lshlrev_b32_e32 v15, 31, v22
	v_or_b32_e32 v18, 0x33800000, v15
	v_add_lshl_u32 v16, v16, v17, 23
	v_lshrrev_b32_e32 v14, 9, v14
	v_sub_u32_e32 v16, v18, v16
	v_or_b32_e32 v14, v16, v14
	v_alignbit_b32 v16, v17, v19, 9
	v_or_b32_e32 v15, v16, v15
	v_xor_b32_e32 v15, 1.0, v15
	s_mov_b32 s2, 0x3fc90fda
	v_mul_f32_e32 v16, 0x3fc90fda, v15
	v_fma_f32 v17, v15, s2, -v16
	v_fmac_f32_e32 v17, 0x33a22168, v15
	v_fmac_f32_e32 v17, 0x3fc90fda, v14
	v_lshrrev_b32_e32 v13, 30, v13
	v_add_f32_e32 v14, v16, v17
	v_add_u32_e32 v13, v23, v13
	s_andn2_saveexec_b64 s[2:3], s[10:11]
	s_cbranch_execnz .LBB0_15
	s_branch .LBB0_16
.LBB0_14:
	s_andn2_saveexec_b64 s[2:3], s[10:11]
.LBB0_15:
	s_mov_b32 s6, 0x3f22f983
	v_mul_f32_e64 v13, |v9|, s6
	v_rndne_f32_e32 v15, v13
	s_mov_b32 s6, 0xbfc90fda
	v_cvt_i32_f32_e32 v13, v15
	v_fma_f32 v14, v15, s6, |v9|
	v_fmac_f32_e32 v14, 0xb3a22168, v15
	v_fmac_f32_e32 v14, 0xa7c234c4, v15
.LBB0_16:
	s_or_b64 exec, exec, s[2:3]
	v_mov_b32_e32 v15, s45
	v_add_co_u32_e32 v16, vcc, s44, v0
	v_addc_co_u32_e32 v17, vcc, v15, v1, vcc
	global_load_dword v15, v[16:17], off
	s_brev_b32 s2, 18
                                        ; implicit-def: $vgpr19
                                        ; implicit-def: $vgpr20
	s_waitcnt vmcnt(0)
	v_and_b32_e32 v16, 0x7fffffff, v15
	v_cmp_nlt_f32_e64 s[10:11], |v15|, s2
	v_lshrrev_b32_e32 v21, 23, v16
	s_and_saveexec_b64 s[2:3], s[10:11]
	s_xor_b64 s[12:13], exec, s[2:3]
	s_cbranch_execz .LBB0_18
; %bb.17:
	v_add_u32_e32 v17, 0xffffff88, v21
	v_not_b32_e32 v18, 63
	v_cmp_lt_u32_e32 vcc, 63, v17
	v_cndmask_b32_e32 v18, 0, v18, vcc
	v_add_u32_e32 v17, v18, v17
	v_not_b32_e32 v18, 31
	v_cmp_lt_u32_e64 s[2:3], 31, v17
	v_cndmask_b32_e64 v20, 0, v18, s[2:3]
	v_add_u32_e32 v17, v20, v17
	v_cmp_lt_u32_e64 s[6:7], 31, v17
	v_cndmask_b32_e64 v18, 0, v18, s[6:7]
	v_add_u32_e32 v17, v18, v17
	v_and_b32_e32 v18, 0x7fffff, v16
	v_or_b32_e32 v20, 0x800000, v18
	s_mov_b32 s8, 0xfe5163ab
	v_mad_u64_u32 v[22:23], s[8:9], v20, s8, 0
	v_mov_b32_e32 v19, 0
	v_mov_b32_e32 v18, v23
	s_mov_b32 s8, 0x3c439041
	v_mad_u64_u32 v[24:25], s[8:9], v20, s8, v[18:19]
	v_mov_b32_e32 v18, v25
	s_mov_b32 s8, 0xdb629599
	v_mad_u64_u32 v[26:27], s[8:9], v20, s8, v[18:19]
	;; [unrolled: 3-line block ×6, first 2 shown]
	v_cndmask_b32_e32 v23, v32, v28, vcc
	v_cndmask_b32_e32 v18, v18, v30, vcc
	;; [unrolled: 1-line block ×3, first 2 shown]
	v_cndmask_b32_e64 v20, v18, v23, s[2:3]
	v_cndmask_b32_e64 v18, v19, v18, s[2:3]
	v_cndmask_b32_e32 v19, v30, v26, vcc
	v_cndmask_b32_e64 v23, v23, v19, s[2:3]
	v_cndmask_b32_e64 v18, v18, v20, s[6:7]
	;; [unrolled: 1-line block ×3, first 2 shown]
	v_sub_u32_e32 v25, 32, v17
	v_alignbit_b32 v27, v18, v20, v25
	v_cmp_eq_u32_e64 s[8:9], 0, v17
	v_cndmask_b32_e64 v17, v27, v18, s[8:9]
	v_cndmask_b32_e32 v18, v28, v24, vcc
	v_cndmask_b32_e64 v19, v19, v18, s[2:3]
	v_cndmask_b32_e64 v23, v23, v19, s[6:7]
	v_alignbit_b32 v24, v20, v23, v25
	v_cndmask_b32_e64 v20, v24, v20, s[8:9]
	v_bfe_u32 v28, v17, 29, 1
	v_cndmask_b32_e32 v22, v26, v22, vcc
	v_alignbit_b32 v24, v17, v20, 30
	v_sub_u32_e32 v29, 0, v28
	v_cndmask_b32_e64 v18, v18, v22, s[2:3]
	v_xor_b32_e32 v30, v24, v29
	v_cndmask_b32_e64 v18, v19, v18, s[6:7]
	v_alignbit_b32 v19, v23, v18, v25
	v_ffbh_u32_e32 v22, v30
	v_cndmask_b32_e64 v19, v19, v23, s[8:9]
	v_add_u32_e32 v22, 1, v22
	v_cmp_ne_u32_e32 vcc, v24, v29
	v_alignbit_b32 v20, v20, v19, 30
	v_cndmask_b32_e32 v22, 33, v22, vcc
	v_alignbit_b32 v18, v19, v18, 30
	v_xor_b32_e32 v20, v20, v29
	v_sub_u32_e32 v23, 32, v22
	v_xor_b32_e32 v18, v18, v29
	v_alignbit_b32 v24, v30, v20, v23
	v_alignbit_b32 v18, v20, v18, v23
	;; [unrolled: 1-line block ×3, first 2 shown]
	v_ffbh_u32_e32 v20, v19
	v_min_u32_e32 v20, 32, v20
	v_lshrrev_b32_e32 v27, 29, v17
	v_sub_u32_e32 v23, 31, v20
	v_alignbit_b32 v18, v19, v18, v23
	v_lshlrev_b32_e32 v19, 31, v27
	v_or_b32_e32 v23, 0x33800000, v19
	v_add_lshl_u32 v20, v20, v22, 23
	v_lshrrev_b32_e32 v18, 9, v18
	v_sub_u32_e32 v20, v23, v20
	v_or_b32_e32 v18, v20, v18
	v_alignbit_b32 v20, v22, v24, 9
	v_or_b32_e32 v19, v20, v19
	v_xor_b32_e32 v19, 1.0, v19
	s_mov_b32 s2, 0x3fc90fda
	v_mul_f32_e32 v20, 0x3fc90fda, v19
	v_fma_f32 v22, v19, s2, -v20
	v_fmac_f32_e32 v22, 0x33a22168, v19
	v_fmac_f32_e32 v22, 0x3fc90fda, v18
	v_lshrrev_b32_e32 v17, 30, v17
	v_add_f32_e32 v20, v20, v22
	v_add_u32_e32 v19, v28, v17
	s_andn2_saveexec_b64 s[2:3], s[12:13]
	s_branch .LBB0_19
.LBB0_18:
	s_andn2_saveexec_b64 s[2:3], s[12:13]
.LBB0_19:
	s_mov_b32 s6, 0x3f22f983
	v_mul_f32_e64 v17, |v15|, s6
	v_rndne_f32_e32 v17, v17
	s_mov_b32 s6, 0xbfc90fda
	v_cvt_i32_f32_e32 v19, v17
	v_fma_f32 v20, v17, s6, |v15|
	v_fmac_f32_e32 v20, 0xb3a22168, v17
	v_fmac_f32_e32 v20, 0xa7c234c4, v17
; %bb.20:
	s_or_b64 exec, exec, s[2:3]
                                        ; implicit-def: $vgpr17
                                        ; implicit-def: $vgpr18
	s_and_saveexec_b64 s[2:3], s[10:11]
	s_xor_b64 s[10:11], exec, s[2:3]
	s_cbranch_execz .LBB0_22
; %bb.21:
	v_add_u32_e32 v17, 0xffffff88, v21
	v_not_b32_e32 v18, 63
	v_cmp_lt_u32_e32 vcc, 63, v17
	v_cndmask_b32_e32 v18, 0, v18, vcc
	v_add_u32_e32 v17, v18, v17
	v_not_b32_e32 v18, 31
	v_cmp_lt_u32_e64 s[2:3], 31, v17
	v_cndmask_b32_e64 v21, 0, v18, s[2:3]
	v_add_u32_e32 v17, v21, v17
	v_cmp_lt_u32_e64 s[6:7], 31, v17
	v_cndmask_b32_e64 v18, 0, v18, s[6:7]
	v_add_u32_e32 v17, v18, v17
	v_and_b32_e32 v18, 0x7fffff, v16
	v_or_b32_e32 v18, 0x800000, v18
	s_mov_b32 s8, 0xfe5163ab
	v_mad_u64_u32 v[24:25], s[8:9], v18, s8, 0
	v_mov_b32_e32 v23, 0
	v_mov_b32_e32 v22, v25
	s_mov_b32 s8, 0x3c439041
	v_mad_u64_u32 v[26:27], s[8:9], v18, s8, v[22:23]
	v_mov_b32_e32 v22, v27
	s_mov_b32 s8, 0xdb629599
	v_mad_u64_u32 v[28:29], s[8:9], v18, s8, v[22:23]
	;; [unrolled: 3-line block ×6, first 2 shown]
	v_cndmask_b32_e32 v21, v34, v30, vcc
	v_cndmask_b32_e32 v18, v22, v32, vcc
	;; [unrolled: 1-line block ×3, first 2 shown]
	v_cndmask_b32_e64 v22, v18, v21, s[2:3]
	v_cndmask_b32_e64 v18, v23, v18, s[2:3]
	v_cndmask_b32_e32 v23, v32, v28, vcc
	v_cndmask_b32_e64 v21, v21, v23, s[2:3]
	v_cndmask_b32_e64 v18, v18, v22, s[6:7]
	;; [unrolled: 1-line block ×3, first 2 shown]
	v_sub_u32_e32 v25, 32, v17
	v_alignbit_b32 v27, v18, v22, v25
	v_cmp_eq_u32_e64 s[8:9], 0, v17
	v_cndmask_b32_e64 v17, v27, v18, s[8:9]
	v_cndmask_b32_e32 v18, v30, v26, vcc
	v_cndmask_b32_e64 v23, v23, v18, s[2:3]
	v_cndmask_b32_e64 v21, v21, v23, s[6:7]
	v_alignbit_b32 v26, v22, v21, v25
	v_cndmask_b32_e32 v24, v28, v24, vcc
	v_cndmask_b32_e64 v22, v26, v22, s[8:9]
	v_bfe_u32 v29, v17, 29, 1
	v_cndmask_b32_e64 v18, v18, v24, s[2:3]
	v_alignbit_b32 v26, v17, v22, 30
	v_sub_u32_e32 v30, 0, v29
	v_cndmask_b32_e64 v18, v23, v18, s[6:7]
	v_xor_b32_e32 v31, v26, v30
	v_alignbit_b32 v23, v21, v18, v25
	v_cndmask_b32_e64 v21, v23, v21, s[8:9]
	v_ffbh_u32_e32 v23, v31
	v_add_u32_e32 v23, 1, v23
	v_cmp_ne_u32_e32 vcc, v26, v30
	v_alignbit_b32 v22, v22, v21, 30
	v_cndmask_b32_e32 v23, 33, v23, vcc
	v_alignbit_b32 v18, v21, v18, 30
	v_xor_b32_e32 v22, v22, v30
	v_sub_u32_e32 v24, 32, v23
	v_xor_b32_e32 v18, v18, v30
	v_alignbit_b32 v25, v31, v22, v24
	v_alignbit_b32 v18, v22, v18, v24
	;; [unrolled: 1-line block ×3, first 2 shown]
	v_ffbh_u32_e32 v22, v21
	v_min_u32_e32 v22, 32, v22
	v_lshrrev_b32_e32 v27, 29, v17
	v_sub_u32_e32 v24, 31, v22
	v_alignbit_b32 v18, v21, v18, v24
	v_lshlrev_b32_e32 v21, 31, v27
	v_or_b32_e32 v24, 0x33800000, v21
	v_add_lshl_u32 v22, v22, v23, 23
	v_lshrrev_b32_e32 v18, 9, v18
	v_sub_u32_e32 v22, v24, v22
	v_or_b32_e32 v18, v22, v18
	v_alignbit_b32 v22, v23, v25, 9
	v_or_b32_e32 v21, v22, v21
	v_xor_b32_e32 v21, 1.0, v21
	s_mov_b32 s2, 0x3fc90fda
	v_mul_f32_e32 v22, 0x3fc90fda, v21
	v_fma_f32 v23, v21, s2, -v22
	v_fmac_f32_e32 v23, 0x33a22168, v21
	v_fmac_f32_e32 v23, 0x3fc90fda, v18
	v_lshrrev_b32_e32 v17, 30, v17
	v_add_f32_e32 v18, v22, v23
	v_add_u32_e32 v17, v29, v17
	s_andn2_saveexec_b64 s[2:3], s[10:11]
	s_cbranch_execnz .LBB0_23
	s_branch .LBB0_24
.LBB0_22:
	s_andn2_saveexec_b64 s[2:3], s[10:11]
.LBB0_23:
	s_mov_b32 s6, 0x3f22f983
	v_mul_f32_e64 v17, |v15|, s6
	v_rndne_f32_e32 v21, v17
	s_mov_b32 s6, 0xbfc90fda
	v_cvt_i32_f32_e32 v17, v21
	v_fma_f32 v18, v21, s6, |v15|
	v_fmac_f32_e32 v18, 0xb3a22168, v21
	v_fmac_f32_e32 v18, 0xa7c234c4, v21
.LBB0_24:
	s_or_b64 exec, exec, s[2:3]
	v_mul_f32_e32 v21, v20, v20
	v_mov_b32_e32 v25, 0xbab64f3b
	v_mov_b32_e32 v23, 0x3c0881c4
	v_fmac_f32_e32 v25, 0x37d75334, v21
	v_mov_b32_e32 v26, 0x3d2aabf7
	v_fmac_f32_e32 v23, 0xb94c1982, v21
	v_mov_b32_e32 v24, 0xbe2aaa9d
	v_fma_f32 v25, v21, v25, v26
	v_mov_b32_e32 v27, 0xbf000004
	v_fma_f32 v23, v21, v23, v24
	v_fma_f32 v25, v21, v25, v27
	v_mul_f32_e32 v23, v21, v23
	v_fma_f32 v21, v21, v25, 1.0
	v_and_b32_e32 v25, 1, v19
	v_lshlrev_b32_e32 v19, 30, v19
	v_fmac_f32_e32 v20, v20, v23
	v_cmp_eq_u32_e32 vcc, 0, v25
	v_and_b32_e32 v19, 0x80000000, v19
	v_xor_b32_e32 v16, v16, v15
	v_cndmask_b32_e32 v20, v21, v20, vcc
	v_xor_b32_e32 v16, v16, v19
	s_movk_i32 s8, 0x1f8
	v_xor_b32_e32 v16, v16, v20
	v_cmp_class_f32_e64 vcc, v15, s8
	v_mul_f32_e32 v15, v14, v14
	v_mov_b32_e32 v20, 0x3c0881c4
	v_fmac_f32_e32 v20, 0xb94c1982, v15
	v_fma_f32 v20, v15, v20, v24
	v_mul_f32_e32 v20, v15, v20
	v_fmac_f32_e32 v14, v14, v20
	v_mov_b32_e32 v20, 0xbab64f3b
	v_fmac_f32_e32 v20, 0x37d75334, v15
	v_fma_f32 v20, v15, v20, v26
	v_fma_f32 v20, v15, v20, v27
	v_fma_f32 v15, v15, v20, 1.0
	v_and_b32_e32 v20, 1, v13
	v_cmp_eq_u32_e64 s[2:3], 0, v20
	v_lshlrev_b32_e32 v13, 30, v13
	v_cndmask_b32_e64 v14, -v14, v15, s[2:3]
	v_and_b32_e32 v13, 0x80000000, v13
	v_mov_b32_e32 v19, 0x7fc00000
	v_xor_b32_e32 v13, v13, v14
	v_cmp_class_f32_e64 s[2:3], v9, s8
	v_cndmask_b32_e64 v20, v19, v13, s[2:3]
	v_mul_f32_e32 v13, v12, v12
	v_mov_b32_e32 v14, 0x3c0881c4
	v_fmac_f32_e32 v14, 0xb94c1982, v13
	v_fma_f32 v14, v13, v14, v24
	v_mul_f32_e32 v14, v13, v14
	v_fmac_f32_e32 v12, v12, v14
	v_mov_b32_e32 v14, 0xbab64f3b
	v_fmac_f32_e32 v14, 0x37d75334, v13
	v_fma_f32 v14, v13, v14, v26
	v_fma_f32 v14, v13, v14, v27
	v_fma_f32 v13, v13, v14, 1.0
	v_and_b32_e32 v14, 1, v11
	v_cmp_eq_u32_e64 s[6:7], 0, v14
	v_lshlrev_b32_e32 v11, 30, v11
	v_xor_b32_e32 v9, v10, v9
	v_mul_f32_e32 v14, v8, v8
	v_mov_b32_e32 v10, 0x3c0881c4
	v_and_b32_e32 v11, 0x80000000, v11
	v_fmac_f32_e32 v10, 0xb94c1982, v14
	v_cndmask_b32_e64 v12, v13, v12, s[6:7]
	v_xor_b32_e32 v9, v9, v11
	v_fma_f32 v10, v14, v10, v24
	v_xor_b32_e32 v9, v9, v12
	v_mul_f32_e32 v10, v14, v10
	v_cndmask_b32_e64 v9, v19, v9, s[2:3]
	v_fmac_f32_e32 v8, v8, v10
	v_mov_b32_e32 v11, s47
	v_add_co_u32_e64 v10, s[2:3], s46, v0
	v_addc_co_u32_e64 v11, s[2:3], v11, v1, s[2:3]
	global_load_dword v10, v[10:11], off
	v_mov_b32_e32 v11, s49
	v_add_co_u32_e64 v12, s[2:3], s48, v0
	v_addc_co_u32_e64 v13, s[2:3], v11, v1, s[2:3]
	global_load_dword v11, v[12:13], off
	;; [unrolled: 4-line block ×3, first 2 shown]
	v_mov_b32_e32 v15, 0xbab64f3b
	v_fmac_f32_e32 v15, 0x37d75334, v14
	v_fma_f32 v0, v14, v15, v26
	v_fma_f32 v0, v14, v0, v27
	v_and_b32_e32 v1, 1, v7
	v_fma_f32 v0, v14, v0, 1.0
	v_cmp_eq_u32_e64 s[2:3], 0, v1
	v_lshlrev_b32_e32 v1, 30, v7
	v_cndmask_b32_e64 v0, -v8, v0, s[2:3]
	v_and_b32_e32 v1, 0x80000000, v1
	v_xor_b32_e32 v0, v1, v0
	v_mul_f32_e32 v1, v6, v6
	v_mov_b32_e32 v7, 0x3c0881c4
	v_fmac_f32_e32 v7, 0xb94c1982, v1
	v_fma_f32 v7, v1, v7, v24
	v_mul_f32_e32 v7, v1, v7
	v_fmac_f32_e32 v6, v6, v7
	v_mov_b32_e32 v7, 0xbab64f3b
	v_fmac_f32_e32 v7, 0x37d75334, v1
	v_fma_f32 v7, v1, v7, v26
	v_fma_f32 v7, v1, v7, v27
	v_fma_f32 v1, v1, v7, 1.0
	v_and_b32_e32 v7, 1, v5
	v_lshlrev_b32_e32 v5, 30, v5
	v_cmp_class_f32_e64 s[2:3], v2, s8
	v_cmp_eq_u32_e64 s[6:7], 0, v7
	v_and_b32_e32 v5, 0x80000000, v5
	v_xor_b32_e32 v2, v3, v2
	v_cndmask_b32_e64 v1, v1, v6, s[6:7]
	v_xor_b32_e32 v2, v2, v5
	v_mov_b32_e32 v22, 0x3c0881c4
	v_xor_b32_e32 v1, v2, v1
	v_mul_f32_e32 v2, v18, v18
	v_mov_b32_e32 v23, 0xbab64f3b
	v_fmac_f32_e32 v22, 0xb94c1982, v2
	v_fmac_f32_e32 v24, v2, v22
	;; [unrolled: 1-line block ×3, first 2 shown]
	v_mul_f32_e32 v3, v2, v24
	v_fmac_f32_e32 v26, v2, v23
	v_fmac_f32_e32 v18, v18, v3
	;; [unrolled: 1-line block ×3, first 2 shown]
	v_and_b32_e32 v3, 1, v17
	v_cndmask_b32_e64 v0, v19, v0, s[2:3]
	v_cndmask_b32_e64 v1, v19, v1, s[2:3]
	s_load_dwordx2 s[6:7], s[4:5], 0x0
	s_load_dwordx4 s[20:23], s[4:5], 0x48
	v_fma_f32 v2, v2, v27, 1.0
	v_cmp_eq_u32_e64 s[2:3], 0, v3
	v_lshlrev_b32_e32 v3, 30, v17
	v_cndmask_b32_e64 v2, -v18, v2, s[2:3]
	v_and_b32_e32 v3, 0x80000000, v3
	v_cndmask_b32_e32 v16, v19, v16, vcc
	v_xor_b32_e32 v2, v3, v2
	v_cndmask_b32_e32 v2, v19, v2, vcc
	v_mul_f32_e32 v3, v1, v9
	v_mul_f32_e32 v6, v0, v16
	v_fma_f32 v8, v3, v2, -v6
	v_mul_f32_e32 v6, v0, v9
	s_waitcnt lgkmcnt(0)
	s_max_i32 s30, s7, 1
	s_max_i32 s31, s6, 1
	s_mov_b32 s25, 0
	v_mul_f32_e32 v5, v20, v2
	v_mul_f32_e32 v13, v6, v2
	;; [unrolled: 1-line block ×4, first 2 shown]
	s_add_u32 s26, s36, 8
	v_fmac_f32_e32 v13, v1, v16
	v_mul_f32_e32 v14, v20, v16
	v_fmac_f32_e32 v15, v3, v16
	v_fma_f32 v16, v6, v16, -v2
	v_mul_f32_e32 v17, v1, v20
	v_mul_f32_e32 v19, v0, v20
	s_addc_u32 s27, s37, 0
	v_mov_b32_e32 v20, 0
	v_mov_b32_e32 v21, s23
	s_movk_i32 s33, 0x46
	s_movk_i32 s34, 0x45
	v_mov_b32_e32 v22, 0x40b00000
	v_mov_b32_e32 v23, 0xff7fffff
	s_mov_b32 s35, 0xf800000
	v_mov_b32_e32 v24, 0x260
	v_mov_b32_e32 v25, 0x3e800000
	;; [unrolled: 1-line block ×4, first 2 shown]
	s_mov_b32 s24, s25
.LBB0_25:                               ; =>This Loop Header: Depth=1
                                        ;     Child Loop BB0_26 Depth 2
	s_lshl_b64 s[2:3], s[24:25], 4
	s_add_u32 s2, s38, s2
	s_addc_u32 s3, s39, s3
	global_load_dwordx4 v[30:33], v20, s[2:3]
	s_mov_b32 s36, s30
	s_mov_b64 s[28:29], s[26:27]
	s_waitcnt vmcnt(0)
	v_ashrrev_i32_e32 v1, 31, v33
	v_mov_b32_e32 v0, v33
	v_lshlrev_b64 v[0:1], 4, v[0:1]
	v_add_co_u32_e32 v0, vcc, s22, v0
	v_addc_co_u32_e32 v1, vcc, v21, v1, vcc
	global_load_dwordx4 v[0:3], v[0:1], off
	v_fma_f32 v27, v5, v30, v10
	v_fma_f32 v28, v14, v30, v11
	v_fma_f32 v29, -v9, v30, v12
	v_fmac_f32_e32 v27, v8, v31
	v_fmac_f32_e32 v28, v15, v31
	;; [unrolled: 1-line block ×6, first 2 shown]
	s_waitcnt vmcnt(0)
	v_cmp_gt_f32_e64 s[8:9], 0, v2
	v_cmp_lt_f32_e64 s[2:3], 0, v2
	v_cmp_eq_u32_e64 s[4:5], s33, v0
	v_cmp_eq_u32_e64 s[6:7], s34, v0
	v_cndmask_b32_e64 v0, 1.0, v22, s[8:9]
	v_mov_b32_e32 v6, v3
	v_cndmask_b32_e64 v3, v23, 1.0, s[8:9]
.LBB0_26:                               ;   Parent Loop BB0_25 Depth=1
                                        ; =>  This Inner Loop Header: Depth=2
	global_load_dwordx4 v[30:33], v20, s[28:29] offset:-8
	v_mov_b32_e32 v7, s23
	s_waitcnt vmcnt(0)
	v_ashrrev_i32_e32 v35, 31, v33
	v_mov_b32_e32 v34, v33
	v_lshlrev_b64 v[34:35], 4, v[34:35]
	v_add_co_u32_e32 v34, vcc, s22, v34
	v_addc_co_u32_e32 v35, vcc, v7, v35, vcc
	global_load_dwordx4 v[34:37], v[34:35], off
	v_sub_f32_e32 v7, v27, v30
	v_sub_f32_e32 v30, v28, v31
	v_mul_f32_e32 v30, v30, v30
	v_sub_f32_e32 v31, v29, v32
	v_fmac_f32_e32 v30, v7, v7
	v_fmac_f32_e32 v30, v31, v31
	v_mul_f32_e32 v7, 0x4f800000, v30
	v_cmp_gt_f32_e32 vcc, s35, v30
	v_cndmask_b32_e32 v7, v30, v7, vcc
	v_sqrt_f32_e32 v30, v7
	v_add_u32_e32 v31, -1, v30
	v_add_u32_e32 v32, 1, v30
	v_fma_f32 v33, -v31, v30, v7
	v_fma_f32 v38, -v32, v30, v7
	v_cmp_ge_f32_e64 s[10:11], 0, v33
	v_cndmask_b32_e64 v30, v30, v31, s[10:11]
	v_cmp_lt_f32_e64 s[10:11], 0, v38
	v_cndmask_b32_e64 v30, v30, v32, s[10:11]
	v_mul_f32_e32 v31, 0x37800000, v30
	v_cndmask_b32_e32 v30, v30, v31, vcc
	v_cmp_class_f32_e32 vcc, v7, v24
	v_cndmask_b32_e32 v32, v30, v7, vcc
	s_waitcnt vmcnt(0)
	v_add_f32_e32 v33, v1, v35
	v_cmp_eq_u32_e32 vcc, s33, v34
	v_cmp_lt_f32_e64 s[12:13], 0, v36
	v_cmp_gt_f32_e64 s[16:17], 0, v36
	v_cmp_eq_u32_e64 s[10:11], s34, v34
	v_cndmask_b32_e64 v34, v3, v0, s[16:17]
	v_div_scale_f32 v35, s[18:19], v33, v33, 1.0
	s_and_b64 vcc, vcc, s[4:5]
	s_and_b64 s[16:17], s[16:17], s[2:3]
	s_and_b64 s[12:13], s[12:13], s[8:9]
	v_cmp_neq_f32_e64 s[14:15], 0, v36
	v_cndmask_b32_e64 v7, 2.0, 4.0, vcc
	v_cndmask_b32_e64 v31, v36, -v36, s[16:17]
	v_cndmask_b32_e64 v36, v2, -v2, s[12:13]
	v_div_scale_f32 v38, s[12:13], v34, v34, 1.0
	v_sub_f32_e32 v40, v32, v33
	v_rcp_f32_e32 v41, v35
	v_cndmask_b32_e32 v42, 0.5, v25, vcc
	v_rcp_f32_e32 v43, v38
	v_cmp_lt_f32_e32 vcc, v40, v7
	v_add_f32_e32 v36, v31, v36
	v_cmp_gt_f32_e64 s[16:17], 0, v40
	v_cndmask_b32_e64 v7, 0, 1.0, vcc
	v_cmp_lt_f32_e32 vcc, v40, v34
	v_fma_f32 v31, -v40, v42, 1.0
	v_mov_b32_e32 v30, v37
	s_and_b64 s[14:15], s[14:15], vcc
	v_cndmask_b32_e64 v31, v31, 1.0, s[16:17]
	v_cndmask_b32_e64 v42, 0, 1.0, s[14:15]
	v_pk_mul_f32 v[30:31], v[6:7], v[30:31]
	v_fma_f32 v7, -v35, v41, 1.0
	v_div_scale_f32 v37, s[18:19], 1.0, v33, 1.0
	v_mul_f32_e32 v36, v36, v42
	v_fma_f32 v42, -v38, v43, 1.0
	v_mul_f32_e32 v30, v30, v31
	s_or_b64 s[10:11], s[10:11], s[6:7]
	v_fmac_f32_e32 v41, v7, v41
	v_div_scale_f32 v39, s[12:13], 1.0, v34, 1.0
	v_fmac_f32_e32 v43, v42, v43
	v_cndmask_b32_e64 v7, v30, -|v30|, s[10:11]
	v_mul_f32_e32 v30, v37, v41
	v_mul_f32_e32 v31, v39, v43
	v_fma_f32 v42, -v35, v30, v37
	v_fma_f32 v45, -v38, v31, v39
	v_fmac_f32_e32 v30, v42, v41
	v_fmac_f32_e32 v31, v45, v43
	v_fma_f32 v35, -v35, v30, v37
	s_mov_b64 vcc, s[18:19]
	v_fma_f32 v37, -v38, v31, v39
	v_div_fmas_f32 v30, v35, v41, v30
	s_mov_b64 vcc, s[12:13]
	v_div_fixup_f32 v30, v30, v33, 1.0
	v_div_fmas_f32 v31, v37, v43, v31
	v_cndmask_b32_e64 v44, 0, v26, s[16:17]
	v_div_fixup_f32 v31, v31, v34, 1.0
	v_fma_f32 v30, -v32, v30, 1.0
	s_add_u32 s28, s28, 16
	v_fmac_f32_e32 v18, v30, v44
	v_fma_f32 v30, -v40, v31, 1.0
	s_addc_u32 s29, s29, 0
	s_add_i32 s36, s36, -1
	v_fmac_f32_e32 v18, 0x42340000, v7
	v_cndmask_b32_e64 v7, v30, 1.0, s[16:17]
	s_cmp_lg_u32 s36, 0
	v_fmac_f32_e32 v18, v36, v7
	s_cbranch_scc1 .LBB0_26
; %bb.27:                               ;   in Loop: Header=BB0_25 Depth=1
	s_add_i32 s24, s24, 1
	s_cmp_lg_u32 s24, s31
	s_cbranch_scc1 .LBB0_25
; %bb.28:
	s_and_saveexec_b64 s[2:3], s[0:1]
	s_cbranch_execz .LBB0_30
; %bb.29:
	v_mov_b32_e32 v5, 0
	v_lshlrev_b64 v[0:1], 2, v[4:5]
	v_mov_b32_e32 v2, s21
	v_add_co_u32_e32 v0, vcc, s20, v0
	v_addc_co_u32_e32 v1, vcc, v2, v1, vcc
	v_mul_f32_e32 v2, 0.5, v18
	global_store_dword v[0:1], v2, off
.LBB0_30:
	s_endpgm
	.section	.rodata,"a",@progbits
	.p2align	6, 0x0
	.amdhsa_kernel _ZL11fasten_mainILm1EEviiPK4AtomS2_PKfS4_S4_S4_S4_S4_PfPK8FFParamsi
		.amdhsa_group_segment_fixed_size 0
		.amdhsa_private_segment_fixed_size 0
		.amdhsa_kernarg_size 352
		.amdhsa_user_sgpr_count 6
		.amdhsa_user_sgpr_private_segment_buffer 1
		.amdhsa_user_sgpr_dispatch_ptr 0
		.amdhsa_user_sgpr_queue_ptr 0
		.amdhsa_user_sgpr_kernarg_segment_ptr 1
		.amdhsa_user_sgpr_dispatch_id 0
		.amdhsa_user_sgpr_flat_scratch_init 0
		.amdhsa_user_sgpr_kernarg_preload_length 0
		.amdhsa_user_sgpr_kernarg_preload_offset 0
		.amdhsa_user_sgpr_private_segment_size 0
		.amdhsa_uses_dynamic_stack 0
		.amdhsa_system_sgpr_private_segment_wavefront_offset 0
		.amdhsa_system_sgpr_workgroup_id_x 1
		.amdhsa_system_sgpr_workgroup_id_y 0
		.amdhsa_system_sgpr_workgroup_id_z 0
		.amdhsa_system_sgpr_workgroup_info 0
		.amdhsa_system_vgpr_workitem_id 0
		.amdhsa_next_free_vgpr 46
		.amdhsa_next_free_sgpr 52
		.amdhsa_accum_offset 48
		.amdhsa_reserve_vcc 1
		.amdhsa_reserve_flat_scratch 0
		.amdhsa_float_round_mode_32 0
		.amdhsa_float_round_mode_16_64 0
		.amdhsa_float_denorm_mode_32 3
		.amdhsa_float_denorm_mode_16_64 3
		.amdhsa_dx10_clamp 1
		.amdhsa_ieee_mode 1
		.amdhsa_fp16_overflow 0
		.amdhsa_tg_split 0
		.amdhsa_exception_fp_ieee_invalid_op 0
		.amdhsa_exception_fp_denorm_src 0
		.amdhsa_exception_fp_ieee_div_zero 0
		.amdhsa_exception_fp_ieee_overflow 0
		.amdhsa_exception_fp_ieee_underflow 0
		.amdhsa_exception_fp_ieee_inexact 0
		.amdhsa_exception_int_div_zero 0
	.end_amdhsa_kernel
	.section	.text._ZL11fasten_mainILm1EEviiPK4AtomS2_PKfS4_S4_S4_S4_S4_PfPK8FFParamsi,"axG",@progbits,_ZL11fasten_mainILm1EEviiPK4AtomS2_PKfS4_S4_S4_S4_S4_PfPK8FFParamsi,comdat
.Lfunc_end0:
	.size	_ZL11fasten_mainILm1EEviiPK4AtomS2_PKfS4_S4_S4_S4_S4_PfPK8FFParamsi, .Lfunc_end0-_ZL11fasten_mainILm1EEviiPK4AtomS2_PKfS4_S4_S4_S4_S4_PfPK8FFParamsi
                                        ; -- End function
	.section	.AMDGPU.csdata,"",@progbits
; Kernel info:
; codeLenInByte = 6152
; NumSgprs: 56
; NumVgprs: 46
; NumAgprs: 0
; TotalNumVgprs: 46
; ScratchSize: 0
; MemoryBound: 0
; FloatMode: 240
; IeeeMode: 1
; LDSByteSize: 0 bytes/workgroup (compile time only)
; SGPRBlocks: 6
; VGPRBlocks: 5
; NumSGPRsForWavesPerEU: 56
; NumVGPRsForWavesPerEU: 46
; AccumOffset: 48
; Occupancy: 8
; WaveLimiterHint : 1
; COMPUTE_PGM_RSRC2:SCRATCH_EN: 0
; COMPUTE_PGM_RSRC2:USER_SGPR: 6
; COMPUTE_PGM_RSRC2:TRAP_HANDLER: 0
; COMPUTE_PGM_RSRC2:TGID_X_EN: 1
; COMPUTE_PGM_RSRC2:TGID_Y_EN: 0
; COMPUTE_PGM_RSRC2:TGID_Z_EN: 0
; COMPUTE_PGM_RSRC2:TIDIG_COMP_CNT: 0
; COMPUTE_PGM_RSRC3_GFX90A:ACCUM_OFFSET: 11
; COMPUTE_PGM_RSRC3_GFX90A:TG_SPLIT: 0
	.section	.text._ZL11fasten_mainILm2EEviiPK4AtomS2_PKfS4_S4_S4_S4_S4_PfPK8FFParamsi,"axG",@progbits,_ZL11fasten_mainILm2EEviiPK4AtomS2_PKfS4_S4_S4_S4_S4_PfPK8FFParamsi,comdat
	.globl	_ZL11fasten_mainILm2EEviiPK4AtomS2_PKfS4_S4_S4_S4_S4_PfPK8FFParamsi ; -- Begin function _ZL11fasten_mainILm2EEviiPK4AtomS2_PKfS4_S4_S4_S4_S4_PfPK8FFParamsi
	.p2align	8
	.type	_ZL11fasten_mainILm2EEviiPK4AtomS2_PKfS4_S4_S4_S4_S4_PfPK8FFParamsi,@function
_ZL11fasten_mainILm2EEviiPK4AtomS2_PKfS4_S4_S4_S4_S4_PfPK8FFParamsi: ; @_ZL11fasten_mainILm2EEviiPK4AtomS2_PKfS4_S4_S4_S4_S4_PfPK8FFParamsi
; %bb.0:
	s_load_dword s6, s[4:5], 0x6c
	s_load_dword s7, s[4:5], 0x58
	s_load_dwordx16 s[36:51], s[4:5], 0x8
	s_add_u32 s0, s0, s9
	s_addc_u32 s1, s1, 0
	s_waitcnt lgkmcnt(0)
	s_and_b32 s33, s6, 0xffff
	s_mul_i32 s8, s8, s33
	v_lshl_add_u32 v8, s8, 1, v0
	s_add_i32 s6, s7, -2
	v_mov_b32_e32 v0, s6
	v_cmp_gt_i32_e64 s[6:7], s7, v8
	v_cndmask_b32_e64 v0, v0, v8, s[6:7]
	v_mov_b32_e32 v14, 0
	v_ashrrev_i32_e32 v1, 31, v0
	v_add_u32_e32 v12, 48, v14
	s_mov_b32 s30, 0
	s_mov_b64 s[14:15], -1
	v_mov_b32_e32 v13, s41
	s_brev_b32 s20, 18
	s_mov_b32 s21, 0xfe5163ab
	s_mov_b32 s22, 0x3c439041
	s_mov_b32 s23, 0xdb629599
	s_mov_b32 s24, 0xf534ddc0
	s_mov_b32 s25, 0xfc2757d1
	s_mov_b32 s26, 0x4e441529
	s_mov_b32 s27, 0xa2f9836e
	s_mov_b32 s28, 0x3fc90fda
	s_mov_b32 s29, 0x3f22f983
	s_mov_b32 s31, 0xbfc90fda
	v_mov_b32_e32 v15, 0xbe2aaa9d
	v_mov_b32_e32 v16, 0x3d2aabf7
	;; [unrolled: 1-line block ×3, first 2 shown]
	s_movk_i32 s34, 0x1f8
	v_mov_b32_e32 v3, 0
	v_not_b32_e32 v18, 63
	v_not_b32_e32 v19, 31
	v_mov_b32_e32 v20, 0x7fc00000
                                        ; implicit-def: $vgpr9
                                        ; implicit-def: $vgpr22
.LBB1_1:                                ; =>This Inner Loop Header: Depth=1
	s_mul_i32 s8, s30, s33
	v_add_co_u32_e32 v4, vcc, s8, v0
	v_addc_co_u32_e32 v5, vcc, 0, v1, vcc
	v_lshlrev_b64 v[4:5], 2, v[4:5]
	v_add_co_u32_e32 v6, vcc, s40, v4
	v_addc_co_u32_e32 v7, vcc, v13, v5, vcc
	global_load_dword v7, v[6:7], off
                                        ; implicit-def: $vgpr21
                                        ; implicit-def: $vgpr23
	s_waitcnt vmcnt(0)
	v_and_b32_e32 v11, 0x7fffffff, v7
	v_lshrrev_b32_e32 v2, 23, v11
	v_and_b32_e32 v6, 0x7fffff, v11
	v_cmp_nlt_f32_e64 s[16:17], |v7|, s20
	v_add_u32_e32 v10, 0xffffff88, v2
	v_or_b32_e32 v6, 0x800000, v6
	s_and_saveexec_b64 s[8:9], s[16:17]
	s_xor_b64 s[18:19], exec, s[8:9]
	s_cbranch_execz .LBB1_3
; %bb.2:                                ;   in Loop: Header=BB1_1 Depth=1
	v_cmp_lt_u32_e32 vcc, 63, v10
	v_cndmask_b32_e32 v2, 0, v18, vcc
	v_add_u32_e32 v2, v2, v10
	v_cmp_lt_u32_e64 s[8:9], 31, v2
	v_cndmask_b32_e64 v21, 0, v19, s[8:9]
	v_add_u32_e32 v2, v21, v2
	v_cmp_lt_u32_e64 s[10:11], 31, v2
	v_cndmask_b32_e64 v21, 0, v19, s[10:11]
	v_mad_u64_u32 v[24:25], s[12:13], v6, s21, 0
	v_add_u32_e32 v21, v21, v2
	v_mov_b32_e32 v2, v25
	v_mad_u64_u32 v[26:27], s[12:13], v6, s22, v[2:3]
	v_mov_b32_e32 v2, v27
	v_mad_u64_u32 v[28:29], s[12:13], v6, s23, v[2:3]
	;; [unrolled: 2-line block ×6, first 2 shown]
	v_cndmask_b32_e32 v23, v34, v30, vcc
	v_cndmask_b32_e32 v2, v36, v32, vcc
	;; [unrolled: 1-line block ×3, first 2 shown]
	v_cndmask_b32_e64 v25, v2, v23, s[8:9]
	v_cndmask_b32_e64 v2, v27, v2, s[8:9]
	v_cndmask_b32_e32 v27, v32, v28, vcc
	v_cndmask_b32_e64 v23, v23, v27, s[8:9]
	v_sub_u32_e32 v29, 32, v21
	v_cmp_eq_u32_e64 s[12:13], 0, v21
	v_cndmask_b32_e32 v21, v30, v26, vcc
	v_cndmask_b32_e64 v2, v2, v25, s[10:11]
	v_cndmask_b32_e64 v25, v25, v23, s[10:11]
	;; [unrolled: 1-line block ×3, first 2 shown]
	v_alignbit_b32 v31, v2, v25, v29
	v_cndmask_b32_e64 v23, v23, v26, s[10:11]
	v_cndmask_b32_e32 v24, v28, v24, vcc
	v_cndmask_b32_e64 v2, v31, v2, s[12:13]
	v_alignbit_b32 v27, v25, v23, v29
	v_cndmask_b32_e64 v21, v21, v24, s[8:9]
	v_cndmask_b32_e64 v25, v27, v25, s[12:13]
	v_bfe_u32 v31, v2, 29, 1
	v_cndmask_b32_e64 v21, v26, v21, s[10:11]
	v_alignbit_b32 v27, v2, v25, 30
	v_sub_u32_e32 v32, 0, v31
	v_alignbit_b32 v24, v23, v21, v29
	v_xor_b32_e32 v33, v27, v32
	v_cndmask_b32_e64 v23, v24, v23, s[12:13]
	v_alignbit_b32 v24, v25, v23, 30
	v_ffbh_u32_e32 v25, v33
	v_add_u32_e32 v25, 1, v25
	v_cmp_ne_u32_e32 vcc, v27, v32
	v_cndmask_b32_e32 v25, 33, v25, vcc
	v_alignbit_b32 v21, v23, v21, 30
	v_xor_b32_e32 v24, v24, v32
	v_sub_u32_e32 v26, 32, v25
	v_xor_b32_e32 v21, v21, v32
	v_alignbit_b32 v27, v33, v24, v26
	v_alignbit_b32 v21, v24, v21, v26
	;; [unrolled: 1-line block ×3, first 2 shown]
	v_ffbh_u32_e32 v24, v23
	v_min_u32_e32 v24, 32, v24
	v_lshrrev_b32_e32 v30, 29, v2
	v_sub_u32_e32 v26, 31, v24
	v_alignbit_b32 v21, v23, v21, v26
	v_lshlrev_b32_e32 v23, 31, v30
	v_or_b32_e32 v26, 0x33800000, v23
	v_add_lshl_u32 v24, v24, v25, 23
	v_lshrrev_b32_e32 v21, 9, v21
	v_sub_u32_e32 v24, v26, v24
	v_or_b32_e32 v21, v24, v21
	v_alignbit_b32 v24, v25, v27, 9
	v_or_b32_e32 v23, v24, v23
	v_xor_b32_e32 v23, 1.0, v23
	v_mul_f32_e32 v24, 0x3fc90fda, v23
	v_fma_f32 v25, v23, s28, -v24
	v_fmac_f32_e32 v25, 0x33a22168, v23
	v_fmac_f32_e32 v25, 0x3fc90fda, v21
	v_lshrrev_b32_e32 v2, 30, v2
	v_add_f32_e32 v23, v24, v25
	v_add_u32_e32 v21, v31, v2
.LBB1_3:                                ;   in Loop: Header=BB1_1 Depth=1
	s_or_saveexec_b64 s[8:9], s[18:19]
	v_mul_f32_e64 v2, |v7|, s29
	v_rndne_f32_e32 v2, v2
	s_xor_b64 exec, exec, s[8:9]
; %bb.4:                                ;   in Loop: Header=BB1_1 Depth=1
	v_cvt_i32_f32_e32 v21, v2
	v_fma_f32 v23, v2, s31, |v7|
	v_fmac_f32_e32 v23, 0xb3a22168, v2
	v_fmac_f32_e32 v23, 0xa7c234c4, v2
; %bb.5:                                ;   in Loop: Header=BB1_1 Depth=1
	s_or_b64 exec, exec, s[8:9]
                                        ; implicit-def: $vgpr24
                                        ; implicit-def: $vgpr25
	s_and_saveexec_b64 s[8:9], s[16:17]
	s_xor_b64 s[16:17], exec, s[8:9]
	s_cbranch_execz .LBB1_7
; %bb.6:                                ;   in Loop: Header=BB1_1 Depth=1
	v_cmp_lt_u32_e32 vcc, 63, v10
	v_cndmask_b32_e32 v2, 0, v18, vcc
	v_add_u32_e32 v2, v2, v10
	v_cmp_lt_u32_e64 s[8:9], 31, v2
	v_cndmask_b32_e64 v10, 0, v19, s[8:9]
	v_add_u32_e32 v2, v10, v2
	v_cmp_lt_u32_e64 s[10:11], 31, v2
	v_cndmask_b32_e64 v10, 0, v19, s[10:11]
	v_mad_u64_u32 v[24:25], s[12:13], v6, s21, 0
	v_add_u32_e32 v10, v10, v2
	v_mov_b32_e32 v2, v25
	v_mad_u64_u32 v[26:27], s[12:13], v6, s22, v[2:3]
	v_mov_b32_e32 v2, v27
	v_mad_u64_u32 v[28:29], s[12:13], v6, s23, v[2:3]
	;; [unrolled: 2-line block ×6, first 2 shown]
	v_cndmask_b32_e32 v25, v34, v30, vcc
	v_cndmask_b32_e32 v2, v36, v32, vcc
	;; [unrolled: 1-line block ×3, first 2 shown]
	v_cndmask_b32_e64 v6, v2, v25, s[8:9]
	v_cndmask_b32_e64 v2, v27, v2, s[8:9]
	v_cndmask_b32_e32 v27, v32, v28, vcc
	v_cndmask_b32_e64 v25, v25, v27, s[8:9]
	v_sub_u32_e32 v29, 32, v10
	v_cmp_eq_u32_e64 s[12:13], 0, v10
	v_cndmask_b32_e32 v10, v30, v26, vcc
	v_cndmask_b32_e64 v2, v2, v6, s[10:11]
	v_cndmask_b32_e64 v6, v6, v25, s[10:11]
	;; [unrolled: 1-line block ×3, first 2 shown]
	v_alignbit_b32 v31, v2, v6, v29
	v_cndmask_b32_e64 v25, v25, v26, s[10:11]
	v_cndmask_b32_e64 v2, v31, v2, s[12:13]
	v_alignbit_b32 v27, v6, v25, v29
	v_cndmask_b32_e32 v24, v28, v24, vcc
	v_cndmask_b32_e64 v6, v27, v6, s[12:13]
	v_bfe_u32 v31, v2, 29, 1
	v_cndmask_b32_e64 v10, v10, v24, s[8:9]
	v_alignbit_b32 v27, v2, v6, 30
	v_sub_u32_e32 v32, 0, v31
	v_cndmask_b32_e64 v10, v26, v10, s[10:11]
	v_xor_b32_e32 v33, v27, v32
	v_alignbit_b32 v24, v25, v10, v29
	v_cndmask_b32_e64 v24, v24, v25, s[12:13]
	v_ffbh_u32_e32 v25, v33
	v_add_u32_e32 v25, 1, v25
	v_cmp_ne_u32_e32 vcc, v27, v32
	v_alignbit_b32 v6, v6, v24, 30
	v_cndmask_b32_e32 v25, 33, v25, vcc
	v_alignbit_b32 v10, v24, v10, 30
	v_xor_b32_e32 v6, v6, v32
	v_sub_u32_e32 v26, 32, v25
	v_xor_b32_e32 v10, v10, v32
	v_alignbit_b32 v27, v33, v6, v26
	v_alignbit_b32 v6, v6, v10, v26
	;; [unrolled: 1-line block ×3, first 2 shown]
	v_ffbh_u32_e32 v24, v10
	v_min_u32_e32 v24, 32, v24
	v_lshrrev_b32_e32 v30, 29, v2
	v_sub_u32_e32 v26, 31, v24
	v_alignbit_b32 v6, v10, v6, v26
	v_lshlrev_b32_e32 v10, 31, v30
	v_or_b32_e32 v26, 0x33800000, v10
	v_add_lshl_u32 v24, v24, v25, 23
	v_lshrrev_b32_e32 v6, 9, v6
	v_sub_u32_e32 v24, v26, v24
	v_or_b32_e32 v6, v24, v6
	v_alignbit_b32 v24, v25, v27, 9
	v_or_b32_e32 v10, v24, v10
	v_xor_b32_e32 v10, 1.0, v10
	v_mul_f32_e32 v24, 0x3fc90fda, v10
	v_fma_f32 v25, v10, s28, -v24
	v_fmac_f32_e32 v25, 0x33a22168, v10
	v_fmac_f32_e32 v25, 0x3fc90fda, v6
	v_lshrrev_b32_e32 v2, 30, v2
	v_add_f32_e32 v25, v24, v25
	v_add_u32_e32 v24, v31, v2
                                        ; implicit-def: $vgpr2
	s_andn2_saveexec_b64 s[8:9], s[16:17]
	s_cbranch_execnz .LBB1_8
	s_branch .LBB1_9
.LBB1_7:                                ;   in Loop: Header=BB1_1 Depth=1
	s_andn2_saveexec_b64 s[8:9], s[16:17]
.LBB1_8:                                ;   in Loop: Header=BB1_1 Depth=1
	v_cvt_i32_f32_e32 v24, v2
	v_fma_f32 v25, v2, s31, |v7|
	v_fmac_f32_e32 v25, 0xb3a22168, v2
	v_fmac_f32_e32 v25, 0xa7c234c4, v2
.LBB1_9:                                ;   in Loop: Header=BB1_1 Depth=1
	s_or_b64 exec, exec, s[8:9]
	v_mov_b32_e32 v2, s43
	v_add_co_u32_e32 v26, vcc, s42, v4
	v_addc_co_u32_e32 v27, vcc, v2, v5, vcc
	global_load_dword v26, v[26:27], off
                                        ; implicit-def: $vgpr28
                                        ; implicit-def: $vgpr29
	s_waitcnt vmcnt(0)
	v_and_b32_e32 v27, 0x7fffffff, v26
	v_lshrrev_b32_e32 v2, 23, v27
	v_and_b32_e32 v6, 0x7fffff, v27
	v_cmp_nlt_f32_e64 s[16:17], |v26|, s20
	v_add_u32_e32 v31, 0xffffff88, v2
	v_or_b32_e32 v6, 0x800000, v6
	s_and_saveexec_b64 s[8:9], s[16:17]
	s_xor_b64 s[18:19], exec, s[8:9]
	s_cbranch_execz .LBB1_11
; %bb.10:                               ;   in Loop: Header=BB1_1 Depth=1
	v_cmp_lt_u32_e32 vcc, 63, v31
	v_cndmask_b32_e32 v2, 0, v18, vcc
	v_add_u32_e32 v2, v2, v31
	v_cmp_lt_u32_e64 s[8:9], 31, v2
	v_cndmask_b32_e64 v10, 0, v19, s[8:9]
	v_add_u32_e32 v2, v10, v2
	v_cmp_lt_u32_e64 s[10:11], 31, v2
	v_cndmask_b32_e64 v10, 0, v19, s[10:11]
	v_mad_u64_u32 v[28:29], s[12:13], v6, s21, 0
	v_add_u32_e32 v10, v10, v2
	v_mov_b32_e32 v2, v29
	v_mad_u64_u32 v[32:33], s[12:13], v6, s22, v[2:3]
	v_mov_b32_e32 v2, v33
	v_mad_u64_u32 v[34:35], s[12:13], v6, s23, v[2:3]
	;; [unrolled: 2-line block ×6, first 2 shown]
	v_cndmask_b32_e32 v29, v40, v36, vcc
	v_cndmask_b32_e32 v2, v42, v38, vcc
	v_cndmask_b32_e32 v33, v43, v40, vcc
	v_cndmask_b32_e64 v30, v2, v29, s[8:9]
	v_cndmask_b32_e64 v2, v33, v2, s[8:9]
	v_cndmask_b32_e32 v33, v38, v34, vcc
	v_cndmask_b32_e64 v29, v29, v33, s[8:9]
	v_sub_u32_e32 v35, 32, v10
	v_cmp_eq_u32_e64 s[12:13], 0, v10
	v_cndmask_b32_e32 v10, v36, v32, vcc
	v_cndmask_b32_e64 v2, v2, v30, s[10:11]
	v_cndmask_b32_e64 v30, v30, v29, s[10:11]
	;; [unrolled: 1-line block ×3, first 2 shown]
	v_alignbit_b32 v37, v2, v30, v35
	v_cndmask_b32_e64 v29, v29, v32, s[10:11]
	v_cndmask_b32_e32 v28, v34, v28, vcc
	v_cndmask_b32_e64 v2, v37, v2, s[12:13]
	v_alignbit_b32 v33, v30, v29, v35
	v_cndmask_b32_e64 v10, v10, v28, s[8:9]
	v_cndmask_b32_e64 v30, v33, v30, s[12:13]
	v_bfe_u32 v37, v2, 29, 1
	v_cndmask_b32_e64 v10, v32, v10, s[10:11]
	v_alignbit_b32 v33, v2, v30, 30
	v_sub_u32_e32 v38, 0, v37
	v_alignbit_b32 v28, v29, v10, v35
	v_xor_b32_e32 v39, v33, v38
	v_cndmask_b32_e64 v28, v28, v29, s[12:13]
	v_alignbit_b32 v29, v30, v28, 30
	v_ffbh_u32_e32 v30, v39
	v_add_u32_e32 v30, 1, v30
	v_cmp_ne_u32_e32 vcc, v33, v38
	v_cndmask_b32_e32 v30, 33, v30, vcc
	v_alignbit_b32 v10, v28, v10, 30
	v_xor_b32_e32 v29, v29, v38
	v_sub_u32_e32 v32, 32, v30
	v_xor_b32_e32 v10, v10, v38
	v_alignbit_b32 v33, v39, v29, v32
	v_alignbit_b32 v10, v29, v10, v32
	;; [unrolled: 1-line block ×3, first 2 shown]
	v_ffbh_u32_e32 v29, v28
	v_min_u32_e32 v29, 32, v29
	v_lshrrev_b32_e32 v36, 29, v2
	v_sub_u32_e32 v32, 31, v29
	v_alignbit_b32 v10, v28, v10, v32
	v_lshlrev_b32_e32 v28, 31, v36
	v_or_b32_e32 v32, 0x33800000, v28
	v_add_lshl_u32 v29, v29, v30, 23
	v_lshrrev_b32_e32 v10, 9, v10
	v_sub_u32_e32 v29, v32, v29
	v_or_b32_e32 v10, v29, v10
	v_alignbit_b32 v29, v30, v33, 9
	v_or_b32_e32 v28, v29, v28
	v_xor_b32_e32 v28, 1.0, v28
	v_mul_f32_e32 v29, 0x3fc90fda, v28
	v_fma_f32 v30, v28, s28, -v29
	v_fmac_f32_e32 v30, 0x33a22168, v28
	v_fmac_f32_e32 v30, 0x3fc90fda, v10
	v_lshrrev_b32_e32 v2, 30, v2
	v_add_f32_e32 v29, v29, v30
	v_add_u32_e32 v28, v37, v2
.LBB1_11:                               ;   in Loop: Header=BB1_1 Depth=1
	s_or_saveexec_b64 s[8:9], s[18:19]
	v_mul_f32_e64 v2, |v26|, s29
	v_rndne_f32_e32 v2, v2
	s_xor_b64 exec, exec, s[8:9]
; %bb.12:                               ;   in Loop: Header=BB1_1 Depth=1
	v_cvt_i32_f32_e32 v28, v2
	v_fma_f32 v29, v2, s31, |v26|
	v_fmac_f32_e32 v29, 0xb3a22168, v2
	v_fmac_f32_e32 v29, 0xa7c234c4, v2
; %bb.13:                               ;   in Loop: Header=BB1_1 Depth=1
	s_or_b64 exec, exec, s[8:9]
                                        ; implicit-def: $vgpr10
                                        ; implicit-def: $vgpr30
	s_and_saveexec_b64 s[8:9], s[16:17]
	s_xor_b64 s[16:17], exec, s[8:9]
	s_cbranch_execz .LBB1_15
; %bb.14:                               ;   in Loop: Header=BB1_1 Depth=1
	v_cmp_lt_u32_e32 vcc, 63, v31
	v_cndmask_b32_e32 v2, 0, v18, vcc
	v_add_u32_e32 v2, v2, v31
	v_cmp_lt_u32_e64 s[8:9], 31, v2
	v_cndmask_b32_e64 v10, 0, v19, s[8:9]
	v_add_u32_e32 v2, v10, v2
	v_cmp_lt_u32_e64 s[10:11], 31, v2
	v_cndmask_b32_e64 v10, 0, v19, s[10:11]
	v_mad_u64_u32 v[30:31], s[12:13], v6, s21, 0
	v_add_u32_e32 v10, v10, v2
	v_mov_b32_e32 v2, v31
	v_mad_u64_u32 v[32:33], s[12:13], v6, s22, v[2:3]
	v_mov_b32_e32 v2, v33
	v_mad_u64_u32 v[34:35], s[12:13], v6, s23, v[2:3]
	;; [unrolled: 2-line block ×6, first 2 shown]
	v_cndmask_b32_e32 v31, v40, v36, vcc
	v_cndmask_b32_e32 v2, v42, v38, vcc
	;; [unrolled: 1-line block ×3, first 2 shown]
	v_cndmask_b32_e64 v6, v2, v31, s[8:9]
	v_cndmask_b32_e64 v2, v33, v2, s[8:9]
	v_cndmask_b32_e32 v33, v38, v34, vcc
	v_cndmask_b32_e64 v31, v31, v33, s[8:9]
	v_sub_u32_e32 v35, 32, v10
	v_cmp_eq_u32_e64 s[12:13], 0, v10
	v_cndmask_b32_e32 v10, v36, v32, vcc
	v_cndmask_b32_e64 v2, v2, v6, s[10:11]
	v_cndmask_b32_e64 v6, v6, v31, s[10:11]
	;; [unrolled: 1-line block ×3, first 2 shown]
	v_alignbit_b32 v37, v2, v6, v35
	v_cndmask_b32_e64 v31, v31, v32, s[10:11]
	v_cndmask_b32_e64 v2, v37, v2, s[12:13]
	v_alignbit_b32 v33, v6, v31, v35
	v_cndmask_b32_e32 v30, v34, v30, vcc
	v_cndmask_b32_e64 v6, v33, v6, s[12:13]
	v_bfe_u32 v37, v2, 29, 1
	v_cndmask_b32_e64 v10, v10, v30, s[8:9]
	v_alignbit_b32 v33, v2, v6, 30
	v_sub_u32_e32 v38, 0, v37
	v_cndmask_b32_e64 v10, v32, v10, s[10:11]
	v_xor_b32_e32 v39, v33, v38
	v_alignbit_b32 v30, v31, v10, v35
	v_cndmask_b32_e64 v30, v30, v31, s[12:13]
	v_ffbh_u32_e32 v31, v39
	v_add_u32_e32 v31, 1, v31
	v_cmp_ne_u32_e32 vcc, v33, v38
	v_alignbit_b32 v6, v6, v30, 30
	v_cndmask_b32_e32 v31, 33, v31, vcc
	v_alignbit_b32 v10, v30, v10, 30
	v_xor_b32_e32 v6, v6, v38
	v_sub_u32_e32 v32, 32, v31
	v_xor_b32_e32 v10, v10, v38
	v_alignbit_b32 v33, v39, v6, v32
	v_alignbit_b32 v6, v6, v10, v32
	;; [unrolled: 1-line block ×3, first 2 shown]
	v_ffbh_u32_e32 v30, v10
	v_min_u32_e32 v30, 32, v30
	v_lshrrev_b32_e32 v36, 29, v2
	v_sub_u32_e32 v32, 31, v30
	v_alignbit_b32 v6, v10, v6, v32
	v_lshlrev_b32_e32 v10, 31, v36
	v_or_b32_e32 v32, 0x33800000, v10
	v_add_lshl_u32 v30, v30, v31, 23
	v_lshrrev_b32_e32 v6, 9, v6
	v_sub_u32_e32 v30, v32, v30
	v_or_b32_e32 v6, v30, v6
	v_alignbit_b32 v30, v31, v33, 9
	v_or_b32_e32 v10, v30, v10
	v_xor_b32_e32 v10, 1.0, v10
	v_mul_f32_e32 v30, 0x3fc90fda, v10
	v_fma_f32 v31, v10, s28, -v30
	v_fmac_f32_e32 v31, 0x33a22168, v10
	v_fmac_f32_e32 v31, 0x3fc90fda, v6
	v_lshrrev_b32_e32 v2, 30, v2
	v_add_f32_e32 v30, v30, v31
	v_add_u32_e32 v10, v37, v2
                                        ; implicit-def: $vgpr2
	s_andn2_saveexec_b64 s[8:9], s[16:17]
	s_cbranch_execnz .LBB1_16
	s_branch .LBB1_17
.LBB1_15:                               ;   in Loop: Header=BB1_1 Depth=1
	s_andn2_saveexec_b64 s[8:9], s[16:17]
.LBB1_16:                               ;   in Loop: Header=BB1_1 Depth=1
	v_cvt_i32_f32_e32 v10, v2
	v_fma_f32 v30, v2, s31, |v26|
	v_fmac_f32_e32 v30, 0xb3a22168, v2
	v_fmac_f32_e32 v30, 0xa7c234c4, v2
.LBB1_17:                               ;   in Loop: Header=BB1_1 Depth=1
	s_or_b64 exec, exec, s[8:9]
	v_mov_b32_e32 v2, s45
	v_add_co_u32_e32 v32, vcc, s44, v4
	v_addc_co_u32_e32 v33, vcc, v2, v5, vcc
	global_load_dword v6, v[32:33], off
                                        ; implicit-def: $vgpr33
                                        ; implicit-def: $vgpr34
	s_waitcnt vmcnt(0)
	v_and_b32_e32 v31, 0x7fffffff, v6
	v_lshrrev_b32_e32 v2, 23, v31
	v_and_b32_e32 v32, 0x7fffff, v31
	v_cmp_nlt_f32_e64 s[16:17], |v6|, s20
	v_add_u32_e32 v36, 0xffffff88, v2
	v_or_b32_e32 v35, 0x800000, v32
	s_and_saveexec_b64 s[8:9], s[16:17]
	s_xor_b64 s[18:19], exec, s[8:9]
	s_cbranch_execz .LBB1_19
; %bb.18:                               ;   in Loop: Header=BB1_1 Depth=1
	v_cmp_lt_u32_e32 vcc, 63, v36
	v_cndmask_b32_e32 v2, 0, v18, vcc
	v_add_u32_e32 v2, v2, v36
	v_cmp_lt_u32_e64 s[8:9], 31, v2
	v_cndmask_b32_e64 v32, 0, v19, s[8:9]
	v_add_u32_e32 v2, v32, v2
	v_cmp_lt_u32_e64 s[10:11], 31, v2
	v_cndmask_b32_e64 v32, 0, v19, s[10:11]
	v_add_u32_e32 v34, v32, v2
	v_mad_u64_u32 v[32:33], s[12:13], v35, s21, 0
	v_mov_b32_e32 v2, v33
	v_mad_u64_u32 v[38:39], s[12:13], v35, s22, v[2:3]
	v_mov_b32_e32 v2, v39
	;; [unrolled: 2-line block ×6, first 2 shown]
	v_mad_u64_u32 v[48:49], s[12:13], v35, s27, v[2:3]
	v_cndmask_b32_e32 v33, v46, v42, vcc
	v_cndmask_b32_e32 v2, v48, v44, vcc
	;; [unrolled: 1-line block ×3, first 2 shown]
	v_cndmask_b32_e64 v37, v2, v33, s[8:9]
	v_cndmask_b32_e64 v2, v39, v2, s[8:9]
	v_cndmask_b32_e32 v39, v44, v40, vcc
	v_cndmask_b32_e64 v33, v33, v39, s[8:9]
	v_sub_u32_e32 v41, 32, v34
	v_cmp_eq_u32_e64 s[12:13], 0, v34
	v_cndmask_b32_e32 v34, v42, v38, vcc
	v_cndmask_b32_e64 v2, v2, v37, s[10:11]
	v_cndmask_b32_e64 v37, v37, v33, s[10:11]
	v_cndmask_b32_e64 v38, v39, v34, s[8:9]
	v_alignbit_b32 v43, v2, v37, v41
	v_cndmask_b32_e64 v33, v33, v38, s[10:11]
	v_cndmask_b32_e32 v32, v40, v32, vcc
	v_cndmask_b32_e64 v2, v43, v2, s[12:13]
	v_alignbit_b32 v39, v37, v33, v41
	v_cndmask_b32_e64 v32, v34, v32, s[8:9]
	v_cndmask_b32_e64 v37, v39, v37, s[12:13]
	v_bfe_u32 v43, v2, 29, 1
	v_cndmask_b32_e64 v32, v38, v32, s[10:11]
	v_alignbit_b32 v39, v2, v37, 30
	v_sub_u32_e32 v44, 0, v43
	v_alignbit_b32 v34, v33, v32, v41
	v_xor_b32_e32 v45, v39, v44
	v_cndmask_b32_e64 v33, v34, v33, s[12:13]
	v_alignbit_b32 v34, v37, v33, 30
	v_ffbh_u32_e32 v37, v45
	v_add_u32_e32 v37, 1, v37
	v_cmp_ne_u32_e32 vcc, v39, v44
	v_cndmask_b32_e32 v37, 33, v37, vcc
	v_alignbit_b32 v32, v33, v32, 30
	v_xor_b32_e32 v34, v34, v44
	v_sub_u32_e32 v38, 32, v37
	v_xor_b32_e32 v32, v32, v44
	v_alignbit_b32 v39, v45, v34, v38
	v_alignbit_b32 v32, v34, v32, v38
	v_alignbit_b32 v33, v39, v32, 9
	v_ffbh_u32_e32 v34, v33
	v_min_u32_e32 v34, 32, v34
	v_lshrrev_b32_e32 v42, 29, v2
	v_sub_u32_e32 v38, 31, v34
	v_alignbit_b32 v32, v33, v32, v38
	v_lshlrev_b32_e32 v33, 31, v42
	v_or_b32_e32 v38, 0x33800000, v33
	v_add_lshl_u32 v34, v34, v37, 23
	v_lshrrev_b32_e32 v32, 9, v32
	v_sub_u32_e32 v34, v38, v34
	v_or_b32_e32 v32, v34, v32
	v_alignbit_b32 v34, v37, v39, 9
	v_or_b32_e32 v33, v34, v33
	v_xor_b32_e32 v33, 1.0, v33
	v_mul_f32_e32 v34, 0x3fc90fda, v33
	v_fma_f32 v37, v33, s28, -v34
	v_fmac_f32_e32 v37, 0x33a22168, v33
	v_fmac_f32_e32 v37, 0x3fc90fda, v32
	v_lshrrev_b32_e32 v2, 30, v2
	v_add_f32_e32 v34, v34, v37
	v_add_u32_e32 v33, v43, v2
.LBB1_19:                               ;   in Loop: Header=BB1_1 Depth=1
	s_or_saveexec_b64 s[8:9], s[18:19]
	v_mul_f32_e64 v2, |v6|, s29
	v_rndne_f32_e32 v37, v2
	s_xor_b64 exec, exec, s[8:9]
; %bb.20:                               ;   in Loop: Header=BB1_1 Depth=1
	v_cvt_i32_f32_e32 v33, v37
	v_fma_f32 v34, v37, s31, |v6|
	v_fmac_f32_e32 v34, 0xb3a22168, v37
	v_fmac_f32_e32 v34, 0xa7c234c4, v37
; %bb.21:                               ;   in Loop: Header=BB1_1 Depth=1
	s_or_b64 exec, exec, s[8:9]
                                        ; implicit-def: $vgpr2
                                        ; implicit-def: $vgpr32
	s_and_saveexec_b64 s[8:9], s[16:17]
	s_xor_b64 s[16:17], exec, s[8:9]
	s_cbranch_execz .LBB1_23
; %bb.22:                               ;   in Loop: Header=BB1_1 Depth=1
	v_cmp_lt_u32_e32 vcc, 63, v36
	v_cndmask_b32_e32 v2, 0, v18, vcc
	v_add_u32_e32 v2, v2, v36
	v_cmp_lt_u32_e64 s[8:9], 31, v2
	v_cndmask_b32_e64 v32, 0, v19, s[8:9]
	v_add_u32_e32 v2, v32, v2
	v_cmp_lt_u32_e64 s[10:11], 31, v2
	v_cndmask_b32_e64 v32, 0, v19, s[10:11]
	v_mad_u64_u32 v[36:37], s[12:13], v35, s21, 0
	v_add_u32_e32 v32, v32, v2
	v_mov_b32_e32 v2, v37
	v_mad_u64_u32 v[38:39], s[12:13], v35, s22, v[2:3]
	v_mov_b32_e32 v2, v39
	v_mad_u64_u32 v[40:41], s[12:13], v35, s23, v[2:3]
	v_mov_b32_e32 v2, v41
	v_mad_u64_u32 v[42:43], s[12:13], v35, s24, v[2:3]
	v_mov_b32_e32 v2, v43
	v_mad_u64_u32 v[44:45], s[12:13], v35, s25, v[2:3]
	v_mov_b32_e32 v2, v45
	v_mad_u64_u32 v[46:47], s[12:13], v35, s26, v[2:3]
	v_mov_b32_e32 v2, v47
	v_mad_u64_u32 v[48:49], s[12:13], v35, s27, v[2:3]
	v_cndmask_b32_e32 v37, v46, v42, vcc
	v_cndmask_b32_e32 v2, v48, v44, vcc
	;; [unrolled: 1-line block ×3, first 2 shown]
	v_cndmask_b32_e64 v35, v2, v37, s[8:9]
	v_cndmask_b32_e64 v2, v39, v2, s[8:9]
	v_cndmask_b32_e32 v39, v44, v40, vcc
	v_cndmask_b32_e64 v37, v37, v39, s[8:9]
	v_sub_u32_e32 v41, 32, v32
	v_cmp_eq_u32_e64 s[12:13], 0, v32
	v_cndmask_b32_e32 v32, v42, v38, vcc
	v_cndmask_b32_e64 v2, v2, v35, s[10:11]
	v_cndmask_b32_e64 v35, v35, v37, s[10:11]
	;; [unrolled: 1-line block ×3, first 2 shown]
	v_alignbit_b32 v43, v2, v35, v41
	v_cndmask_b32_e64 v37, v37, v38, s[10:11]
	v_cndmask_b32_e64 v2, v43, v2, s[12:13]
	v_alignbit_b32 v39, v35, v37, v41
	v_cndmask_b32_e32 v36, v40, v36, vcc
	v_cndmask_b32_e64 v35, v39, v35, s[12:13]
	v_bfe_u32 v43, v2, 29, 1
	v_cndmask_b32_e64 v32, v32, v36, s[8:9]
	v_alignbit_b32 v39, v2, v35, 30
	v_sub_u32_e32 v44, 0, v43
	v_cndmask_b32_e64 v32, v38, v32, s[10:11]
	v_xor_b32_e32 v45, v39, v44
	v_alignbit_b32 v36, v37, v32, v41
	v_cndmask_b32_e64 v36, v36, v37, s[12:13]
	v_ffbh_u32_e32 v37, v45
	v_add_u32_e32 v37, 1, v37
	v_cmp_ne_u32_e32 vcc, v39, v44
	v_alignbit_b32 v35, v35, v36, 30
	v_cndmask_b32_e32 v37, 33, v37, vcc
	v_alignbit_b32 v32, v36, v32, 30
	v_xor_b32_e32 v35, v35, v44
	v_sub_u32_e32 v38, 32, v37
	v_xor_b32_e32 v32, v32, v44
	v_alignbit_b32 v39, v45, v35, v38
	v_alignbit_b32 v32, v35, v32, v38
	;; [unrolled: 1-line block ×3, first 2 shown]
	v_ffbh_u32_e32 v36, v35
	v_min_u32_e32 v36, 32, v36
	v_lshrrev_b32_e32 v42, 29, v2
	v_sub_u32_e32 v38, 31, v36
	v_alignbit_b32 v32, v35, v32, v38
	v_lshlrev_b32_e32 v35, 31, v42
	v_or_b32_e32 v38, 0x33800000, v35
	v_add_lshl_u32 v36, v36, v37, 23
	v_lshrrev_b32_e32 v32, 9, v32
	v_sub_u32_e32 v36, v38, v36
	v_or_b32_e32 v32, v36, v32
	v_alignbit_b32 v36, v37, v39, 9
	v_or_b32_e32 v35, v36, v35
	v_xor_b32_e32 v35, 1.0, v35
	v_mul_f32_e32 v36, 0x3fc90fda, v35
	v_fma_f32 v37, v35, s28, -v36
	v_fmac_f32_e32 v37, 0x33a22168, v35
	v_fmac_f32_e32 v37, 0x3fc90fda, v32
	v_lshrrev_b32_e32 v2, 30, v2
	v_add_f32_e32 v32, v36, v37
	v_add_u32_e32 v2, v43, v2
                                        ; implicit-def: $vgpr37
	s_andn2_saveexec_b64 s[8:9], s[16:17]
	s_cbranch_execnz .LBB1_24
	s_branch .LBB1_25
.LBB1_23:                               ;   in Loop: Header=BB1_1 Depth=1
	s_andn2_saveexec_b64 s[8:9], s[16:17]
.LBB1_24:                               ;   in Loop: Header=BB1_1 Depth=1
	v_cvt_i32_f32_e32 v2, v37
	v_fma_f32 v32, v37, s31, |v6|
	v_fmac_f32_e32 v32, 0xb3a22168, v37
	v_fmac_f32_e32 v32, 0xa7c234c4, v37
.LBB1_25:                               ;   in Loop: Header=BB1_1 Depth=1
	s_or_b64 exec, exec, s[8:9]
	v_mul_f32_e32 v35, v34, v34
	v_mov_b32_e32 v36, 0x3c0881c4
	v_fmac_f32_e32 v36, 0xb94c1982, v35
	v_fma_f32 v36, v35, v36, v15
	v_mul_f32_e32 v36, v35, v36
	v_fmac_f32_e32 v34, v34, v36
	v_mov_b32_e32 v36, 0xbab64f3b
	v_fmac_f32_e32 v36, 0x37d75334, v35
	v_fma_f32 v36, v35, v36, v16
	v_fma_f32 v36, v35, v36, v17
	v_fma_f32 v35, v35, v36, 1.0
	v_and_b32_e32 v36, 1, v33
	v_lshlrev_b32_e32 v33, 30, v33
	v_cmp_eq_u32_e32 vcc, 0, v36
	v_and_b32_e32 v33, 0x80000000, v33
	v_xor_b32_e32 v31, v31, v6
	v_cndmask_b32_e32 v34, v35, v34, vcc
	v_xor_b32_e32 v31, v31, v33
	v_xor_b32_e32 v31, v31, v34
	v_cmp_class_f32_e64 vcc, v6, s34
	v_cndmask_b32_e32 v6, v20, v31, vcc
	v_mul_f32_e32 v31, v30, v30
	v_mov_b32_e32 v33, 0x3c0881c4
	v_fmac_f32_e32 v33, 0xb94c1982, v31
	v_fma_f32 v33, v31, v33, v15
	v_mul_f32_e32 v33, v31, v33
	v_fmac_f32_e32 v30, v30, v33
	v_mov_b32_e32 v33, 0xbab64f3b
	v_fmac_f32_e32 v33, 0x37d75334, v31
	v_fma_f32 v33, v31, v33, v16
	v_fma_f32 v33, v31, v33, v17
	v_fma_f32 v31, v31, v33, 1.0
	v_and_b32_e32 v33, 1, v10
	v_cmp_eq_u32_e64 s[8:9], 0, v33
	v_lshlrev_b32_e32 v10, 30, v10
	v_cndmask_b32_e64 v30, -v30, v31, s[8:9]
	v_and_b32_e32 v10, 0x80000000, v10
	v_xor_b32_e32 v10, v10, v30
	v_mul_f32_e32 v30, v29, v29
	v_mov_b32_e32 v31, 0x3c0881c4
	v_fmac_f32_e32 v31, 0xb94c1982, v30
	v_fma_f32 v31, v30, v31, v15
	v_mul_f32_e32 v31, v30, v31
	v_fmac_f32_e32 v29, v29, v31
	v_mov_b32_e32 v31, 0xbab64f3b
	v_fmac_f32_e32 v31, 0x37d75334, v30
	v_fma_f32 v31, v30, v31, v16
	v_fma_f32 v31, v30, v31, v17
	v_fma_f32 v30, v30, v31, 1.0
	v_and_b32_e32 v31, 1, v28
	v_lshlrev_b32_e32 v28, 30, v28
	v_cmp_class_f32_e64 s[8:9], v26, s34
	v_cmp_eq_u32_e64 s[10:11], 0, v31
	v_and_b32_e32 v28, 0x80000000, v28
	v_xor_b32_e32 v26, v27, v26
	v_cndmask_b32_e64 v29, v30, v29, s[10:11]
	v_xor_b32_e32 v26, v26, v28
	v_xor_b32_e32 v26, v26, v29
	v_cndmask_b32_e64 v10, v20, v10, s[8:9]
	v_cndmask_b32_e64 v30, v20, v26, s[8:9]
	v_mov_b32_e32 v27, s47
	v_add_co_u32_e64 v26, s[8:9], s46, v4
	v_addc_co_u32_e64 v27, s[8:9], v27, v5, s[8:9]
	v_mul_f32_e32 v28, v25, v25
	global_load_dword v31, v[26:27], off
	v_mov_b32_e32 v26, 0x3c0881c4
	v_fmac_f32_e32 v26, 0xb94c1982, v28
	v_fma_f32 v26, v28, v26, v15
	v_mul_f32_e32 v29, v28, v26
	v_mov_b32_e32 v27, s49
	v_add_co_u32_e64 v26, s[8:9], s48, v4
	v_addc_co_u32_e64 v27, s[8:9], v27, v5, s[8:9]
	global_load_dword v33, v[26:27], off
	v_mov_b32_e32 v26, s51
	v_add_co_u32_e64 v4, s[8:9], s50, v4
	v_addc_co_u32_e64 v5, s[8:9], v26, v5, s[8:9]
	global_load_dword v34, v[4:5], off
	v_mov_b32_e32 v4, 0xbab64f3b
	v_fmac_f32_e32 v4, 0x37d75334, v28
	v_fma_f32 v4, v28, v4, v16
	v_fma_f32 v4, v28, v4, v17
	v_and_b32_e32 v5, 1, v24
	v_fmac_f32_e32 v25, v25, v29
	v_fma_f32 v4, v28, v4, 1.0
	v_cmp_eq_u32_e64 s[8:9], 0, v5
	v_lshlrev_b32_e32 v5, 30, v24
	v_cndmask_b32_e64 v4, -v25, v4, s[8:9]
	v_and_b32_e32 v5, 0x80000000, v5
	v_xor_b32_e32 v4, v5, v4
	v_cmp_class_f32_e64 s[8:9], v7, s34
	v_cndmask_b32_e64 v5, v20, v4, s[8:9]
	v_mul_f32_e32 v4, v23, v23
	v_mov_b32_e32 v24, 0x3c0881c4
	v_fmac_f32_e32 v24, 0xb94c1982, v4
	v_fma_f32 v24, v4, v24, v15
	v_mul_f32_e32 v24, v4, v24
	v_fmac_f32_e32 v23, v23, v24
	v_mov_b32_e32 v24, 0xbab64f3b
	v_fmac_f32_e32 v24, 0x37d75334, v4
	v_fma_f32 v24, v4, v24, v16
	v_fma_f32 v24, v4, v24, v17
	v_fma_f32 v4, v4, v24, 1.0
	v_and_b32_e32 v24, 1, v21
	v_lshlrev_b32_e32 v21, 30, v21
	v_cmp_eq_u32_e64 s[10:11], 0, v24
	v_and_b32_e32 v21, 0x80000000, v21
	v_xor_b32_e32 v7, v11, v7
	v_cndmask_b32_e64 v4, v4, v23, s[10:11]
	v_xor_b32_e32 v7, v7, v21
	v_xor_b32_e32 v4, v7, v4
	v_mul_f32_e32 v7, v32, v32
	v_mov_b32_e32 v11, 0x3c0881c4
	v_fmac_f32_e32 v11, 0xb94c1982, v7
	v_fma_f32 v11, v7, v11, v15
	v_mul_f32_e32 v11, v7, v11
	v_fmac_f32_e32 v32, v32, v11
	v_mov_b32_e32 v11, 0xbab64f3b
	v_fmac_f32_e32 v11, 0x37d75334, v7
	v_fma_f32 v11, v7, v11, v16
	v_fma_f32 v11, v7, v11, v17
	v_fma_f32 v7, v7, v11, 1.0
	v_and_b32_e32 v11, 1, v2
	v_cndmask_b32_e64 v4, v20, v4, s[8:9]
	v_cmp_eq_u32_e64 s[8:9], 0, v11
	v_lshlrev_b32_e32 v2, 30, v2
	v_cndmask_b32_e64 v7, -v32, v7, s[8:9]
	v_and_b32_e32 v2, 0x80000000, v2
	v_xor_b32_e32 v2, v2, v7
	v_cndmask_b32_e32 v24, v20, v2, vcc
	v_mul_f32_e32 v2, v4, v30
	v_mul_f32_e32 v21, v5, v30
	s_xor_b64 s[12:13], s[14:15], -1
	v_mul_f32_e32 v11, v2, v24
	v_mul_f32_e32 v25, v5, v6
	v_mul_f32_e32 v7, v21, v24
	v_pk_mul_f32 v[26:27], v[10:11], v[24:25]
	v_fmac_f32_e32 v7, v4, v6
	s_cmp_lg_u32 s30, 0
	v_pk_add_f32 v[28:29], v[10:11], v[24:25] neg_lo:[0,1] neg_hi:[0,1]
	buffer_store_dword v26, v14, s[0:3], 0 offen
	buffer_store_dword v29, v14, s[0:3], 0 offen offset:4
	buffer_store_dword v7, v14, s[0:3], 0 offen offset:8
	s_waitcnt vmcnt(5)
	buffer_store_dword v31, v14, s[0:3], 0 offen offset:12
	v_mul_f32_e32 v11, v2, v6
	v_mul_f32_e32 v7, v5, v24
	;; [unrolled: 1-line block ×3, first 2 shown]
	s_cselect_b64 vcc, -1, 0
	s_cmp_lg_u32 s30, 1
	v_pk_mul_f32 v[26:27], v[10:11], v[6:7]
	v_fma_f32 v2, v21, v6, -v2
	v_cndmask_b32_e32 v9, 0, v9, vcc
	s_cselect_b64 vcc, -1, 0
	v_pk_add_f32 v[28:29], v[10:11], v[6:7]
	buffer_store_dword v26, v14, s[0:3], 0 offen offset:16
	buffer_store_dword v29, v14, s[0:3], 0 offen offset:20
	buffer_store_dword v2, v14, s[0:3], 0 offen offset:24
	s_waitcnt vmcnt(8)
	buffer_store_dword v33, v14, s[0:3], 0 offen offset:28
	v_xor_b32_e32 v2, 0x80000000, v30
	v_pk_mul_f32 v[4:5], v[4:5], v[10:11] op_sel_hi:[1,0]
	v_cndmask_b32_e32 v22, 0, v22, vcc
	s_andn2_b64 vcc, exec, s[12:13]
	s_mov_b64 s[14:15], 0
	buffer_store_dword v2, v14, s[0:3], 0 offen offset:32
	buffer_store_dword v5, v14, s[0:3], 0 offen offset:40
	;; [unrolled: 1-line block ×3, first 2 shown]
	s_waitcnt vmcnt(11)
	buffer_store_dword v34, v14, s[0:3], 0 offen offset:44
	s_cbranch_vccz .LBB1_27
; %bb.26:                               ;   in Loop: Header=BB1_1 Depth=1
	v_mov_b32_e32 v14, v12
	s_mov_b32 s30, 1
	s_branch .LBB1_1
.LBB1_27:
	buffer_load_dword v23, off, s[0:3], 0
	buffer_load_dword v24, off, s[0:3], 0 offset:4
	buffer_load_dword v25, off, s[0:3], 0 offset:8
	;; [unrolled: 1-line block ×23, first 2 shown]
	s_load_dwordx2 s[8:9], s[4:5], 0x0
	s_load_dwordx4 s[28:31], s[4:5], 0x48
	v_mov_b32_e32 v39, 0
	s_movk_i32 s44, 0x46
	s_movk_i32 s45, 0x45
	s_waitcnt lgkmcnt(0)
	s_max_i32 s42, s9, 1
	s_max_i32 s43, s8, 1
	s_add_u32 s34, s36, 8
	s_addc_u32 s35, s37, 0
	s_mov_b32 s37, 0
	s_mov_b32 s46, 0xf800000
	v_mov_b32_e32 v40, 0x260
	v_mov_b32_e32 v41, 0x42980000
	s_mov_b32 s36, s37
.LBB1_28:                               ; =>This Loop Header: Depth=1
                                        ;     Child Loop BB1_29 Depth 2
	s_lshl_b64 s[4:5], s[36:37], 4
	s_add_u32 s4, s38, s4
	s_addc_u32 s5, s39, s5
	global_load_dwordx4 v[4:7], v39, s[4:5]
	v_mov_b32_e32 v2, s31
	s_mov_b32 s47, s42
	s_mov_b64 s[40:41], s[34:35]
	s_waitcnt vmcnt(0)
	v_ashrrev_i32_e32 v1, 31, v7
	v_mov_b32_e32 v0, v7
	v_lshlrev_b64 v[0:1], 4, v[0:1]
	v_add_co_u32_e32 v0, vcc, s30, v0
	v_addc_co_u32_e32 v1, vcc, v2, v1, vcc
	global_load_dwordx4 v[0:3], v[0:1], off
	v_fma_f32 v42, v4, v23, v26
	v_fma_f32 v43, v4, v27, v30
	;; [unrolled: 1-line block ×3, first 2 shown]
	v_pk_fma_f32 v[18:19], v[4:5], v[10:11], v[16:17] op_sel_hi:[0,1,1]
	v_fma_f32 v45, v4, v35, v37
	v_fmac_f32_e32 v42, v5, v24
	v_fmac_f32_e32 v43, v5, v28
	;; [unrolled: 1-line block ×3, first 2 shown]
	v_pk_fma_f32 v[18:19], v[4:5], v[12:13], v[18:19] op_sel:[1,0,0]
	v_fmac_f32_e32 v45, v5, v36
	v_fmac_f32_e32 v42, v6, v25
	;; [unrolled: 1-line block ×4, first 2 shown]
	v_pk_fma_f32 v[18:19], v[6:7], v[14:15], v[18:19] op_sel_hi:[0,1,1]
	v_fmac_f32_e32 v45, v6, v38
	s_waitcnt vmcnt(0)
	v_cmp_eq_u32_e64 s[8:9], s44, v0
	v_cmp_eq_u32_e64 s[10:11], s45, v0
	v_cmp_gt_f32_e64 s[12:13], 0, v2
	v_mov_b32_e32 v0, 0x40b00000
	v_mov_b32_e32 v20, v3
	;; [unrolled: 1-line block ×3, first 2 shown]
	v_cmp_lt_f32_e64 s[4:5], 0, v2
	v_cndmask_b32_e64 v0, 1.0, v0, s[12:13]
	v_cndmask_b32_e64 v3, v3, 1.0, s[12:13]
.LBB1_29:                               ;   Parent Loop BB1_28 Depth=1
                                        ; =>  This Inner Loop Header: Depth=2
	global_load_dwordx4 v[4:7], v39, s[40:41] offset:-8
	v_mov_b32_e32 v21, s31
	v_mov_b32_e32 v48, 0x3e800000
	s_waitcnt vmcnt(0)
	v_ashrrev_i32_e32 v47, 31, v7
	v_mov_b32_e32 v46, v7
	v_sub_f32_e32 v49, v44, v6
	v_sub_f32_e32 v50, v45, v6
	v_lshlrev_b64 v[6:7], 4, v[46:47]
	v_sub_f32_e32 v51, v42, v4
	v_sub_f32_e32 v52, v43, v5
	v_pk_add_f32 v[4:5], v[18:19], v[4:5] neg_lo:[0,1] neg_hi:[0,1]
	v_add_co_u32_e32 v6, vcc, s30, v6
	v_pk_mul_f32 v[4:5], v[4:5], v[4:5]
	v_addc_co_u32_e32 v7, vcc, v21, v7, vcc
	v_add_f32_e32 v21, v4, v5
	global_load_dwordx4 v[4:7], v[6:7], off
	v_mul_f32_e32 v46, v52, v52
	v_fmac_f32_e32 v46, v51, v51
	v_fmac_f32_e32 v46, v49, v49
	;; [unrolled: 1-line block ×3, first 2 shown]
	v_mul_f32_e32 v47, 0x4f800000, v46
	v_cmp_gt_f32_e64 s[14:15], s46, v46
	v_mul_f32_e32 v49, 0x4f800000, v21
	v_cmp_gt_f32_e32 vcc, s46, v21
	v_cndmask_b32_e64 v46, v46, v47, s[14:15]
	v_cndmask_b32_e32 v21, v21, v49, vcc
	v_sqrt_f32_e32 v47, v46
	v_sqrt_f32_e32 v49, v21
	v_add_u32_e32 v50, -1, v47
	v_add_u32_e32 v52, -1, v49
	v_fma_f32 v54, -v50, v47, v46
	v_add_u32_e32 v51, 1, v47
	v_add_u32_e32 v53, 1, v49
	v_fma_f32 v56, -v52, v49, v21
	v_cmp_ge_f32_e64 s[16:17], 0, v54
	v_fma_f32 v55, -v51, v47, v46
	v_fma_f32 v57, -v53, v49, v21
	v_cndmask_b32_e64 v47, v47, v50, s[16:17]
	v_cmp_ge_f32_e64 s[16:17], 0, v56
	v_cndmask_b32_e64 v49, v49, v52, s[16:17]
	v_cmp_lt_f32_e64 s[16:17], 0, v57
	v_cmp_lt_f32_e64 s[18:19], 0, v55
	v_cndmask_b32_e64 v47, v47, v51, s[18:19]
	v_cndmask_b32_e64 v49, v49, v53, s[16:17]
	v_mul_f32_e32 v50, 0x37800000, v47
	v_mul_f32_e32 v51, 0x37800000, v49
	v_cndmask_b32_e64 v47, v47, v50, s[14:15]
	v_cndmask_b32_e32 v49, v49, v51, vcc
	v_cmp_class_f32_e32 vcc, v21, v40
	v_cmp_class_f32_e64 s[14:15], v46, v40
	v_cndmask_b32_e64 v46, v47, v46, s[14:15]
	v_cndmask_b32_e32 v47, v49, v21, vcc
	s_waitcnt vmcnt(0)
	v_add_f32_e32 v49, v1, v5
	v_cmp_lt_f32_e64 s[16:17], 0, v6
	v_cmp_gt_f32_e64 s[20:21], 0, v6
	v_cmp_eq_u32_e32 vcc, s44, v4
	v_cmp_eq_u32_e64 s[14:15], s45, v4
	v_cndmask_b32_e64 v50, v3, v0, s[20:21]
	v_mov_b32_e32 v4, v7
	v_div_scale_f32 v7, s[22:23], v49, v49, 1.0
	s_and_b64 s[16:17], s[16:17], s[12:13]
	s_and_b64 vcc, vcc, s[8:9]
	v_cndmask_b32_e64 v21, v2, -v2, s[16:17]
	v_div_scale_f32 v52, s[16:17], v50, v50, 1.0
	v_rcp_f32_e32 v56, v7
	v_cndmask_b32_e64 v5, 2.0, 4.0, vcc
	s_and_b64 s[20:21], s[20:21], s[4:5]
	v_sub_f32_e32 v54, v46, v49
	v_sub_f32_e32 v55, v47, v49
	v_cndmask_b32_e32 v48, 0.5, v48, vcc
	v_rcp_f32_e32 v57, v52
	v_cmp_neq_f32_e64 s[18:19], 0, v6
	v_cndmask_b32_e64 v6, v6, -v6, s[20:21]
	v_cmp_gt_f32_e64 s[20:21], 0, v54
	v_cmp_lt_f32_e32 vcc, v54, v5
	v_cmp_gt_f32_e64 s[24:25], 0, v55
	v_cmp_lt_f32_e64 s[26:27], v55, v5
	v_fma_f32 v5, -v48, v54, 1.0
	v_fma_f32 v48, -v48, v55, 1.0
	v_add_f32_e32 v6, v6, v21
	v_cndmask_b32_e64 v21, 0, 1.0, s[26:27]
	v_cndmask_b32_e64 v63, v5, 1.0, s[20:21]
	;; [unrolled: 1-line block ×3, first 2 shown]
	v_cndmask_b32_e64 v59, 0, 1.0, vcc
	v_pk_mul_f32 v[4:5], v[20:21], v[4:5]
	v_fma_f32 v21, -v7, v56, 1.0
	v_div_scale_f32 v51, s[22:23], 1.0, v49, 1.0
	v_cmp_lt_f32_e32 vcc, v54, v50
	v_cmp_lt_f32_e64 s[26:27], v55, v50
	v_mul_f32_e32 v48, v59, v63
	v_fma_f32 v59, -v52, v57, 1.0
	v_fmac_f32_e32 v56, v21, v56
	v_div_scale_f32 v53, s[16:17], 1.0, v50, 1.0
	s_and_b64 s[48:49], s[18:19], vcc
	s_and_b64 s[18:19], s[18:19], s[26:27]
	v_mul_f32_e32 v48, v4, v48
	s_or_b64 s[14:15], s[14:15], s[10:11]
	v_fmac_f32_e32 v57, v59, v57
	v_mul_f32_e32 v21, v51, v56
	v_cndmask_b32_e64 v61, 0, 1.0, s[48:49]
	v_cndmask_b32_e64 v62, 0, 1.0, s[18:19]
	v_mul_f32_e32 v4, v4, v5
	v_cndmask_b32_e64 v5, v48, -|v48|, s[14:15]
	v_mul_f32_e32 v48, v53, v57
	v_fma_f32 v59, -v7, v21, v51
	v_mul_f32_e32 v61, v6, v61
	v_mul_f32_e32 v6, v6, v62
	v_fma_f32 v62, -v52, v48, v53
	v_fmac_f32_e32 v21, v59, v56
	v_fmac_f32_e32 v48, v62, v57
	v_fma_f32 v7, -v7, v21, v51
	s_mov_b64 vcc, s[22:23]
	v_fma_f32 v51, -v52, v48, v53
	v_div_fmas_f32 v7, v7, v56, v21
	s_mov_b64 vcc, s[16:17]
	v_div_fixup_f32 v7, v7, v49, 1.0
	v_div_fmas_f32 v21, v51, v57, v48
	v_cndmask_b32_e64 v58, 0, v41, s[20:21]
	v_cndmask_b32_e64 v60, 0, v41, s[24:25]
	v_div_fixup_f32 v21, v21, v50, 1.0
	v_fma_f32 v46, -v7, v46, 1.0
	v_fma_f32 v7, -v7, v47, 1.0
	v_cndmask_b32_e64 v4, v4, -|v4|, s[14:15]
	s_add_u32 s40, s40, 16
	v_fmac_f32_e32 v9, v46, v58
	v_fma_f32 v46, -v21, v54, 1.0
	v_fmac_f32_e32 v22, v7, v60
	v_fma_f32 v7, -v21, v55, 1.0
	s_addc_u32 s41, s41, 0
	s_add_i32 s47, s47, -1
	v_cndmask_b32_e64 v21, v46, 1.0, s[20:21]
	v_fmac_f32_e32 v9, 0x42340000, v5
	v_fmac_f32_e32 v22, 0x42340000, v4
	v_cndmask_b32_e64 v4, v7, 1.0, s[24:25]
	s_cmp_lg_u32 s47, 0
	v_fmac_f32_e32 v9, v21, v61
	v_fmac_f32_e32 v22, v4, v6
	s_cbranch_scc1 .LBB1_29
; %bb.30:                               ;   in Loop: Header=BB1_28 Depth=1
	s_add_i32 s36, s36, 1
	s_cmp_lg_u32 s36, s43
	s_cbranch_scc1 .LBB1_28
; %bb.31:
	s_and_saveexec_b64 s[4:5], s[6:7]
	s_cbranch_execz .LBB1_33
; %bb.32:
	v_mul_f32_e32 v2, 0.5, v9
	v_mov_b32_e32 v9, 0
	v_lshlrev_b64 v[0:1], 2, v[8:9]
	v_mov_b32_e32 v3, s29
	v_add_co_u32_e32 v0, vcc, s28, v0
	v_addc_co_u32_e32 v1, vcc, v3, v1, vcc
	v_add_u32_e32 v8, s33, v8
	global_store_dword v[0:1], v2, off
	v_lshlrev_b64 v[0:1], 2, v[8:9]
	v_add_co_u32_e32 v0, vcc, s28, v0
	v_mul_f32_e32 v2, 0.5, v22
	v_addc_co_u32_e32 v1, vcc, v3, v1, vcc
	global_store_dword v[0:1], v2, off
.LBB1_33:
	s_endpgm
	.section	.rodata,"a",@progbits
	.p2align	6, 0x0
	.amdhsa_kernel _ZL11fasten_mainILm2EEviiPK4AtomS2_PKfS4_S4_S4_S4_S4_PfPK8FFParamsi
		.amdhsa_group_segment_fixed_size 0
		.amdhsa_private_segment_fixed_size 112
		.amdhsa_kernarg_size 352
		.amdhsa_user_sgpr_count 8
		.amdhsa_user_sgpr_private_segment_buffer 1
		.amdhsa_user_sgpr_dispatch_ptr 0
		.amdhsa_user_sgpr_queue_ptr 0
		.amdhsa_user_sgpr_kernarg_segment_ptr 1
		.amdhsa_user_sgpr_dispatch_id 0
		.amdhsa_user_sgpr_flat_scratch_init 1
		.amdhsa_user_sgpr_kernarg_preload_length 0
		.amdhsa_user_sgpr_kernarg_preload_offset 0
		.amdhsa_user_sgpr_private_segment_size 0
		.amdhsa_uses_dynamic_stack 0
		.amdhsa_system_sgpr_private_segment_wavefront_offset 1
		.amdhsa_system_sgpr_workgroup_id_x 1
		.amdhsa_system_sgpr_workgroup_id_y 0
		.amdhsa_system_sgpr_workgroup_id_z 0
		.amdhsa_system_sgpr_workgroup_info 0
		.amdhsa_system_vgpr_workitem_id 0
		.amdhsa_next_free_vgpr 64
		.amdhsa_next_free_sgpr 52
		.amdhsa_accum_offset 64
		.amdhsa_reserve_vcc 1
		.amdhsa_reserve_flat_scratch 0
		.amdhsa_float_round_mode_32 0
		.amdhsa_float_round_mode_16_64 0
		.amdhsa_float_denorm_mode_32 3
		.amdhsa_float_denorm_mode_16_64 3
		.amdhsa_dx10_clamp 1
		.amdhsa_ieee_mode 1
		.amdhsa_fp16_overflow 0
		.amdhsa_tg_split 0
		.amdhsa_exception_fp_ieee_invalid_op 0
		.amdhsa_exception_fp_denorm_src 0
		.amdhsa_exception_fp_ieee_div_zero 0
		.amdhsa_exception_fp_ieee_overflow 0
		.amdhsa_exception_fp_ieee_underflow 0
		.amdhsa_exception_fp_ieee_inexact 0
		.amdhsa_exception_int_div_zero 0
	.end_amdhsa_kernel
	.section	.text._ZL11fasten_mainILm2EEviiPK4AtomS2_PKfS4_S4_S4_S4_S4_PfPK8FFParamsi,"axG",@progbits,_ZL11fasten_mainILm2EEviiPK4AtomS2_PKfS4_S4_S4_S4_S4_PfPK8FFParamsi,comdat
.Lfunc_end1:
	.size	_ZL11fasten_mainILm2EEviiPK4AtomS2_PKfS4_S4_S4_S4_S4_PfPK8FFParamsi, .Lfunc_end1-_ZL11fasten_mainILm2EEviiPK4AtomS2_PKfS4_S4_S4_S4_S4_PfPK8FFParamsi
                                        ; -- End function
	.section	.AMDGPU.csdata,"",@progbits
; Kernel info:
; codeLenInByte = 6340
; NumSgprs: 56
; NumVgprs: 64
; NumAgprs: 0
; TotalNumVgprs: 64
; ScratchSize: 112
; MemoryBound: 0
; FloatMode: 240
; IeeeMode: 1
; LDSByteSize: 0 bytes/workgroup (compile time only)
; SGPRBlocks: 6
; VGPRBlocks: 7
; NumSGPRsForWavesPerEU: 56
; NumVGPRsForWavesPerEU: 64
; AccumOffset: 64
; Occupancy: 8
; WaveLimiterHint : 1
; COMPUTE_PGM_RSRC2:SCRATCH_EN: 1
; COMPUTE_PGM_RSRC2:USER_SGPR: 8
; COMPUTE_PGM_RSRC2:TRAP_HANDLER: 0
; COMPUTE_PGM_RSRC2:TGID_X_EN: 1
; COMPUTE_PGM_RSRC2:TGID_Y_EN: 0
; COMPUTE_PGM_RSRC2:TGID_Z_EN: 0
; COMPUTE_PGM_RSRC2:TIDIG_COMP_CNT: 0
; COMPUTE_PGM_RSRC3_GFX90A:ACCUM_OFFSET: 15
; COMPUTE_PGM_RSRC3_GFX90A:TG_SPLIT: 0
	.section	.text._ZL11fasten_mainILm4EEviiPK4AtomS2_PKfS4_S4_S4_S4_S4_PfPK8FFParamsi,"axG",@progbits,_ZL11fasten_mainILm4EEviiPK4AtomS2_PKfS4_S4_S4_S4_S4_PfPK8FFParamsi,comdat
	.globl	_ZL11fasten_mainILm4EEviiPK4AtomS2_PKfS4_S4_S4_S4_S4_PfPK8FFParamsi ; -- Begin function _ZL11fasten_mainILm4EEviiPK4AtomS2_PKfS4_S4_S4_S4_S4_PfPK8FFParamsi
	.p2align	8
	.type	_ZL11fasten_mainILm4EEviiPK4AtomS2_PKfS4_S4_S4_S4_S4_PfPK8FFParamsi,@function
_ZL11fasten_mainILm4EEviiPK4AtomS2_PKfS4_S4_S4_S4_S4_PfPK8FFParamsi: ; @_ZL11fasten_mainILm4EEviiPK4AtomS2_PKfS4_S4_S4_S4_S4_PfPK8FFParamsi
; %bb.0:
	s_load_dword s6, s[4:5], 0x6c
	s_load_dword s7, s[4:5], 0x58
	s_load_dwordx16 s[44:59], s[4:5], 0x8
	s_add_u32 s0, s0, s9
	s_addc_u32 s1, s1, 0
	s_waitcnt lgkmcnt(0)
	s_and_b32 s33, s6, 0xffff
	s_mul_i32 s8, s8, s33
	v_lshl_add_u32 v8, s8, 2, v0
	s_add_i32 s6, s7, -4
	v_mov_b32_e32 v0, s6
	v_cmp_gt_i32_e64 s[6:7], s7, v8
	v_cndmask_b32_e64 v0, v0, v8, s[6:7]
	v_ashrrev_i32_e32 v1, 31, v0
	v_lshlrev_b64 v[0:1], 2, v[0:1]
	s_lshl_b32 s20, s33, 2
	s_mov_b32 s21, 0
	v_mov_b32_e32 v9, 0
	s_mov_b64 s[14:15], 0
	v_mov_b32_e32 v12, s49
	s_brev_b32 s22, 18
	s_mov_b32 s23, 0xfe5163ab
	s_mov_b32 s24, 0x3c439041
	;; [unrolled: 1-line block ×10, first 2 shown]
	v_mov_b32_e32 v13, 0xbe2aaa9d
	v_mov_b32_e32 v14, 0x3d2aabf7
	;; [unrolled: 1-line block ×3, first 2 shown]
	s_movk_i32 s35, 0x1f8
	v_mov_b32_e32 v3, 0
	v_not_b32_e32 v16, 63
	v_not_b32_e32 v17, 31
	v_mov_b32_e32 v18, 0x7fc00000
                                        ; implicit-def: $vgpr10
                                        ; implicit-def: $vgpr45
                                        ; implicit-def: $vgpr44
	s_branch .LBB2_2
.LBB2_1:                                ;   in Loop: Header=BB2_2 Depth=1
	s_or_b64 exec, exec, s[8:9]
	v_mul_f32_e32 v32, v31, v31
	v_mov_b32_e32 v33, 0x3c0881c4
	v_fmac_f32_e32 v33, 0xb94c1982, v32
	v_fma_f32 v33, v32, v33, v13
	v_mul_f32_e32 v33, v32, v33
	v_fmac_f32_e32 v31, v31, v33
	v_mov_b32_e32 v33, 0xbab64f3b
	v_fmac_f32_e32 v33, 0x37d75334, v32
	v_fma_f32 v33, v32, v33, v14
	v_fma_f32 v33, v32, v33, v15
	v_fma_f32 v32, v32, v33, 1.0
	v_and_b32_e32 v33, 1, v30
	v_lshlrev_b32_e32 v30, 30, v30
	v_cmp_eq_u32_e32 vcc, 0, v33
	v_and_b32_e32 v30, 0x80000000, v30
	v_xor_b32_e32 v28, v28, v4
	v_cndmask_b32_e32 v31, v32, v31, vcc
	v_xor_b32_e32 v28, v28, v30
	v_xor_b32_e32 v28, v28, v31
	v_cmp_class_f32_e64 vcc, v4, s35
	v_cndmask_b32_e32 v4, v18, v28, vcc
	v_mul_f32_e32 v28, v27, v27
	v_mov_b32_e32 v30, 0x3c0881c4
	v_fmac_f32_e32 v30, 0xb94c1982, v28
	v_fma_f32 v30, v28, v30, v13
	v_mul_f32_e32 v30, v28, v30
	v_fmac_f32_e32 v27, v27, v30
	v_mov_b32_e32 v30, 0xbab64f3b
	v_fmac_f32_e32 v30, 0x37d75334, v28
	v_fma_f32 v30, v28, v30, v14
	v_fma_f32 v30, v28, v30, v15
	v_fma_f32 v28, v28, v30, 1.0
	v_and_b32_e32 v30, 1, v6
	v_cmp_eq_u32_e64 s[8:9], 0, v30
	v_lshlrev_b32_e32 v6, 30, v6
	v_cndmask_b32_e64 v27, -v27, v28, s[8:9]
	v_and_b32_e32 v6, 0x80000000, v6
	v_xor_b32_e32 v6, v6, v27
	v_mul_f32_e32 v27, v26, v26
	v_mov_b32_e32 v28, 0x3c0881c4
	v_fmac_f32_e32 v28, 0xb94c1982, v27
	v_fma_f32 v28, v27, v28, v13
	v_mul_f32_e32 v28, v27, v28
	v_fmac_f32_e32 v26, v26, v28
	v_mov_b32_e32 v28, 0xbab64f3b
	v_fmac_f32_e32 v28, 0x37d75334, v27
	v_fma_f32 v28, v27, v28, v14
	v_fma_f32 v28, v27, v28, v15
	v_fma_f32 v27, v27, v28, 1.0
	v_and_b32_e32 v28, 1, v25
	v_lshlrev_b32_e32 v25, 30, v25
	v_cmp_class_f32_e64 s[8:9], v23, s35
	v_cmp_eq_u32_e64 s[10:11], 0, v28
	v_and_b32_e32 v25, 0x80000000, v25
	v_xor_b32_e32 v23, v24, v23
	v_cndmask_b32_e64 v26, v27, v26, s[10:11]
	v_xor_b32_e32 v23, v23, v25
	v_xor_b32_e32 v23, v23, v26
	v_cndmask_b32_e64 v6, v18, v6, s[8:9]
	v_cndmask_b32_e64 v28, v18, v23, s[8:9]
	v_mov_b32_e32 v25, s55
	v_add_co_u32_e64 v24, s[8:9], s54, v0
	v_addc_co_u32_e64 v25, s[8:9], v25, v1, s[8:9]
	v_mul_f32_e32 v23, v22, v22
	global_load_dword v30, v[24:25], off
	v_mov_b32_e32 v24, 0x3c0881c4
	v_fmac_f32_e32 v24, 0xb94c1982, v23
	v_fma_f32 v24, v23, v24, v13
	v_mul_f32_e32 v26, v23, v24
	v_mov_b32_e32 v25, s57
	v_add_co_u32_e64 v24, s[8:9], s56, v0
	v_addc_co_u32_e64 v25, s[8:9], v25, v1, s[8:9]
	global_load_dword v31, v[24:25], off
	v_mov_b32_e32 v25, s59
	v_add_co_u32_e64 v24, s[8:9], s58, v0
	v_addc_co_u32_e64 v25, s[8:9], v25, v1, s[8:9]
	global_load_dword v32, v[24:25], off
	v_mov_b32_e32 v24, 0xbab64f3b
	v_fmac_f32_e32 v24, 0x37d75334, v23
	v_fma_f32 v24, v23, v24, v14
	v_fma_f32 v24, v23, v24, v15
	v_fma_f32 v23, v23, v24, 1.0
	v_and_b32_e32 v24, 1, v21
	v_fmac_f32_e32 v22, v22, v26
	v_cmp_eq_u32_e64 s[8:9], 0, v24
	v_lshlrev_b32_e32 v21, 30, v21
	v_cndmask_b32_e64 v22, -v22, v23, s[8:9]
	v_and_b32_e32 v21, 0x80000000, v21
	v_xor_b32_e32 v21, v21, v22
	v_mul_f32_e32 v22, v20, v20
	v_mov_b32_e32 v23, 0x3c0881c4
	v_fmac_f32_e32 v23, 0xb94c1982, v22
	v_fma_f32 v23, v22, v23, v13
	v_mul_f32_e32 v23, v22, v23
	v_fmac_f32_e32 v20, v20, v23
	v_mov_b32_e32 v23, 0xbab64f3b
	v_fmac_f32_e32 v23, 0x37d75334, v22
	v_fma_f32 v23, v22, v23, v14
	v_fma_f32 v23, v22, v23, v15
	v_fma_f32 v22, v22, v23, 1.0
	v_and_b32_e32 v23, 1, v19
	v_lshlrev_b32_e32 v19, 30, v19
	v_cmp_class_f32_e64 s[8:9], v5, s35
	v_cmp_eq_u32_e64 s[10:11], 0, v23
	v_and_b32_e32 v19, 0x80000000, v19
	v_xor_b32_e32 v5, v7, v5
	v_cndmask_b32_e64 v20, v22, v20, s[10:11]
	v_xor_b32_e32 v5, v5, v19
	v_xor_b32_e32 v5, v5, v20
	v_cndmask_b32_e64 v20, v18, v5, s[8:9]
	v_mul_f32_e32 v5, v29, v29
	v_mov_b32_e32 v7, 0x3c0881c4
	v_fmac_f32_e32 v7, 0xb94c1982, v5
	v_fma_f32 v7, v5, v7, v13
	v_mul_f32_e32 v7, v5, v7
	v_fmac_f32_e32 v29, v29, v7
	v_mov_b32_e32 v7, 0xbab64f3b
	v_fmac_f32_e32 v7, 0x37d75334, v5
	v_fma_f32 v7, v5, v7, v14
	v_fma_f32 v7, v5, v7, v15
	v_fma_f32 v5, v5, v7, 1.0
	v_and_b32_e32 v7, 1, v2
	v_cndmask_b32_e64 v21, v18, v21, s[8:9]
	v_cmp_eq_u32_e64 s[8:9], 0, v7
	v_lshlrev_b32_e32 v2, 30, v2
	v_cndmask_b32_e64 v5, -v29, v5, s[8:9]
	v_and_b32_e32 v2, 0x80000000, v2
	v_xor_b32_e32 v2, v2, v5
	v_cndmask_b32_e32 v22, v18, v2, vcc
	v_mul_f32_e32 v2, v20, v28
	v_mul_f32_e32 v19, v21, v28
	;; [unrolled: 1-line block ×5, first 2 shown]
	s_cmp_lg_u32 s14, 0
	v_pk_mul_f32 v[24:25], v[6:7], v[22:23]
	v_fmac_f32_e32 v5, v20, v4
	s_cselect_b64 vcc, -1, 0
	s_cmp_lg_u32 s14, 1
	v_pk_add_f32 v[26:27], v[6:7], v[22:23] neg_lo:[0,1] neg_hi:[0,1]
	buffer_store_dword v24, v9, s[0:3], 0 offen
	buffer_store_dword v27, v9, s[0:3], 0 offen offset:4
	buffer_store_dword v5, v9, s[0:3], 0 offen offset:8
	s_waitcnt vmcnt(5)
	buffer_store_dword v30, v9, s[0:3], 0 offen offset:12
	v_mul_f32_e32 v7, v2, v4
	v_mul_f32_e32 v5, v21, v22
	;; [unrolled: 1-line block ×3, first 2 shown]
	v_cndmask_b32_e32 v10, 0, v10, vcc
	s_cselect_b64 vcc, -1, 0
	s_cmp_lg_u32 s14, 2
	v_pk_mul_f32 v[24:25], v[6:7], v[4:5]
	v_fma_f32 v2, v19, v4, -v2
	v_cndmask_b32_e32 v11, 0, v11, vcc
	s_cselect_b64 vcc, -1, 0
	s_cmp_lg_u32 s14, 3
	v_pk_add_f32 v[26:27], v[6:7], v[4:5]
	buffer_store_dword v24, v9, s[0:3], 0 offen offset:16
	buffer_store_dword v27, v9, s[0:3], 0 offen offset:20
	;; [unrolled: 1-line block ×3, first 2 shown]
	s_waitcnt vmcnt(8)
	buffer_store_dword v31, v9, s[0:3], 0 offen offset:28
	v_xor_b32_e32 v2, 0x80000000, v28
	v_cndmask_b32_e32 v45, 0, v45, vcc
	s_cselect_b64 vcc, -1, 0
	s_add_u32 s14, s14, 1
	buffer_store_dword v2, v9, s[0:3], 0 offen offset:32
	v_pk_mul_f32 v[4:5], v[20:21], v[6:7] op_sel_hi:[1,0]
	v_cndmask_b32_e32 v44, 0, v44, vcc
	s_addc_u32 s15, s15, 0
	v_mov_b32_e32 v2, s21
	v_add_co_u32_e32 v0, vcc, s20, v0
	buffer_store_dword v5, v9, s[0:3], 0 offen offset:40
	buffer_store_dword v4, v9, s[0:3], 0 offen offset:36
	s_waitcnt vmcnt(11)
	buffer_store_dword v32, v9, s[0:3], 0 offen offset:44
	v_addc_co_u32_e32 v1, vcc, v1, v2, vcc
	s_cmp_lg_u32 s14, 4
	v_add_u32_e32 v9, 48, v9
	s_cbranch_scc0 .LBB2_26
.LBB2_2:                                ; =>This Inner Loop Header: Depth=1
	v_add_co_u32_e32 v4, vcc, s48, v0
	v_addc_co_u32_e32 v5, vcc, v12, v1, vcc
	global_load_dword v5, v[4:5], off
                                        ; implicit-def: $vgpr19
                                        ; implicit-def: $vgpr20
	s_waitcnt vmcnt(0)
	v_and_b32_e32 v7, 0x7fffffff, v5
	v_lshrrev_b32_e32 v2, 23, v7
	v_and_b32_e32 v4, 0x7fffff, v7
	v_cmp_nlt_f32_e64 s[16:17], |v5|, s22
	v_add_u32_e32 v6, 0xffffff88, v2
	v_or_b32_e32 v4, 0x800000, v4
	s_and_saveexec_b64 s[8:9], s[16:17]
	s_xor_b64 s[18:19], exec, s[8:9]
	s_cbranch_execz .LBB2_4
; %bb.3:                                ;   in Loop: Header=BB2_2 Depth=1
	v_cmp_lt_u32_e32 vcc, 63, v6
	v_cndmask_b32_e32 v2, 0, v16, vcc
	v_add_u32_e32 v2, v2, v6
	v_cmp_lt_u32_e64 s[8:9], 31, v2
	v_cndmask_b32_e64 v19, 0, v17, s[8:9]
	v_add_u32_e32 v2, v19, v2
	v_cmp_lt_u32_e64 s[10:11], 31, v2
	v_cndmask_b32_e64 v19, 0, v17, s[10:11]
	v_mad_u64_u32 v[20:21], s[12:13], v4, s23, 0
	v_add_u32_e32 v19, v19, v2
	v_mov_b32_e32 v2, v21
	v_mad_u64_u32 v[22:23], s[12:13], v4, s24, v[2:3]
	v_mov_b32_e32 v2, v23
	v_mad_u64_u32 v[24:25], s[12:13], v4, s25, v[2:3]
	;; [unrolled: 2-line block ×6, first 2 shown]
	v_cndmask_b32_e32 v21, v30, v26, vcc
	v_cndmask_b32_e32 v2, v32, v28, vcc
	;; [unrolled: 1-line block ×3, first 2 shown]
	v_cndmask_b32_e64 v23, v2, v21, s[8:9]
	v_cndmask_b32_e64 v2, v25, v2, s[8:9]
	v_cndmask_b32_e32 v25, v28, v24, vcc
	v_cndmask_b32_e64 v21, v21, v25, s[8:9]
	v_sub_u32_e32 v27, 32, v19
	v_cmp_eq_u32_e64 s[12:13], 0, v19
	v_cndmask_b32_e32 v19, v26, v22, vcc
	v_cndmask_b32_e64 v2, v2, v23, s[10:11]
	v_cndmask_b32_e64 v23, v23, v21, s[10:11]
	v_cndmask_b32_e64 v22, v25, v19, s[8:9]
	v_alignbit_b32 v28, v2, v23, v27
	v_cndmask_b32_e64 v21, v21, v22, s[10:11]
	v_cndmask_b32_e64 v2, v28, v2, s[12:13]
	v_alignbit_b32 v25, v23, v21, v27
	v_cndmask_b32_e64 v23, v25, v23, s[12:13]
	v_bfe_u32 v28, v2, 29, 1
	v_cndmask_b32_e32 v20, v24, v20, vcc
	v_alignbit_b32 v25, v2, v23, 30
	v_sub_u32_e32 v29, 0, v28
	v_cndmask_b32_e64 v19, v19, v20, s[8:9]
	v_xor_b32_e32 v30, v25, v29
	v_cndmask_b32_e64 v19, v22, v19, s[10:11]
	v_alignbit_b32 v20, v21, v19, v27
	v_ffbh_u32_e32 v22, v30
	v_cndmask_b32_e64 v20, v20, v21, s[12:13]
	v_add_u32_e32 v22, 1, v22
	v_cmp_ne_u32_e32 vcc, v25, v29
	v_alignbit_b32 v21, v23, v20, 30
	v_cndmask_b32_e32 v22, 33, v22, vcc
	v_alignbit_b32 v19, v20, v19, 30
	v_xor_b32_e32 v21, v21, v29
	v_sub_u32_e32 v23, 32, v22
	v_xor_b32_e32 v19, v19, v29
	v_alignbit_b32 v24, v30, v21, v23
	v_alignbit_b32 v19, v21, v19, v23
	;; [unrolled: 1-line block ×3, first 2 shown]
	v_ffbh_u32_e32 v21, v20
	v_min_u32_e32 v21, 32, v21
	v_lshrrev_b32_e32 v26, 29, v2
	v_sub_u32_e32 v23, 31, v21
	v_alignbit_b32 v19, v20, v19, v23
	v_lshlrev_b32_e32 v20, 31, v26
	v_or_b32_e32 v23, 0x33800000, v20
	v_add_lshl_u32 v21, v21, v22, 23
	v_lshrrev_b32_e32 v19, 9, v19
	v_sub_u32_e32 v21, v23, v21
	v_or_b32_e32 v19, v21, v19
	v_alignbit_b32 v21, v22, v24, 9
	v_or_b32_e32 v20, v21, v20
	v_xor_b32_e32 v20, 1.0, v20
	v_mul_f32_e32 v21, 0x3fc90fda, v20
	v_fma_f32 v22, v20, s30, -v21
	v_fmac_f32_e32 v22, 0x33a22168, v20
	v_fmac_f32_e32 v22, 0x3fc90fda, v19
	v_lshrrev_b32_e32 v2, 30, v2
	v_add_f32_e32 v20, v21, v22
	v_add_u32_e32 v19, v28, v2
.LBB2_4:                                ;   in Loop: Header=BB2_2 Depth=1
	s_or_saveexec_b64 s[8:9], s[18:19]
	v_mul_f32_e64 v2, |v5|, s31
	v_rndne_f32_e32 v2, v2
	s_xor_b64 exec, exec, s[8:9]
; %bb.5:                                ;   in Loop: Header=BB2_2 Depth=1
	v_cvt_i32_f32_e32 v19, v2
	v_fma_f32 v20, v2, s34, |v5|
	v_fmac_f32_e32 v20, 0xb3a22168, v2
	v_fmac_f32_e32 v20, 0xa7c234c4, v2
; %bb.6:                                ;   in Loop: Header=BB2_2 Depth=1
	s_or_b64 exec, exec, s[8:9]
                                        ; implicit-def: $vgpr21
                                        ; implicit-def: $vgpr22
	s_and_saveexec_b64 s[8:9], s[16:17]
	s_xor_b64 s[16:17], exec, s[8:9]
	s_cbranch_execz .LBB2_8
; %bb.7:                                ;   in Loop: Header=BB2_2 Depth=1
	v_cmp_lt_u32_e32 vcc, 63, v6
	v_cndmask_b32_e32 v2, 0, v16, vcc
	v_add_u32_e32 v2, v2, v6
	v_cmp_lt_u32_e64 s[8:9], 31, v2
	v_cndmask_b32_e64 v6, 0, v17, s[8:9]
	v_add_u32_e32 v2, v6, v2
	v_cmp_lt_u32_e64 s[10:11], 31, v2
	v_cndmask_b32_e64 v6, 0, v17, s[10:11]
	v_mad_u64_u32 v[22:23], s[12:13], v4, s23, 0
	v_add_u32_e32 v6, v6, v2
	v_mov_b32_e32 v2, v23
	v_mad_u64_u32 v[24:25], s[12:13], v4, s24, v[2:3]
	v_mov_b32_e32 v2, v25
	v_mad_u64_u32 v[26:27], s[12:13], v4, s25, v[2:3]
	;; [unrolled: 2-line block ×6, first 2 shown]
	v_cndmask_b32_e32 v21, v32, v28, vcc
	v_cndmask_b32_e32 v2, v34, v30, vcc
	;; [unrolled: 1-line block ×3, first 2 shown]
	v_cndmask_b32_e64 v4, v2, v21, s[8:9]
	v_cndmask_b32_e64 v2, v23, v2, s[8:9]
	v_cndmask_b32_e32 v23, v30, v26, vcc
	v_cndmask_b32_e64 v21, v21, v23, s[8:9]
	v_sub_u32_e32 v25, 32, v6
	v_cmp_eq_u32_e64 s[12:13], 0, v6
	v_cndmask_b32_e32 v6, v28, v24, vcc
	v_cndmask_b32_e64 v2, v2, v4, s[10:11]
	v_cndmask_b32_e64 v4, v4, v21, s[10:11]
	;; [unrolled: 1-line block ×3, first 2 shown]
	v_alignbit_b32 v27, v2, v4, v25
	v_cndmask_b32_e64 v21, v21, v23, s[10:11]
	v_cndmask_b32_e64 v2, v27, v2, s[12:13]
	v_alignbit_b32 v24, v4, v21, v25
	v_cndmask_b32_e32 v22, v26, v22, vcc
	v_cndmask_b32_e64 v4, v24, v4, s[12:13]
	v_bfe_u32 v28, v2, 29, 1
	v_cndmask_b32_e64 v6, v6, v22, s[8:9]
	v_alignbit_b32 v24, v2, v4, 30
	v_sub_u32_e32 v29, 0, v28
	v_cndmask_b32_e64 v6, v23, v6, s[10:11]
	v_xor_b32_e32 v30, v24, v29
	v_alignbit_b32 v22, v21, v6, v25
	v_cndmask_b32_e64 v21, v22, v21, s[12:13]
	v_ffbh_u32_e32 v22, v30
	v_add_u32_e32 v22, 1, v22
	v_cmp_ne_u32_e32 vcc, v24, v29
	v_alignbit_b32 v4, v4, v21, 30
	v_cndmask_b32_e32 v22, 33, v22, vcc
	v_alignbit_b32 v6, v21, v6, 30
	v_xor_b32_e32 v4, v4, v29
	v_sub_u32_e32 v23, 32, v22
	v_xor_b32_e32 v6, v6, v29
	v_alignbit_b32 v24, v30, v4, v23
	v_alignbit_b32 v4, v4, v6, v23
	;; [unrolled: 1-line block ×3, first 2 shown]
	v_ffbh_u32_e32 v21, v6
	v_min_u32_e32 v21, 32, v21
	v_lshrrev_b32_e32 v27, 29, v2
	v_sub_u32_e32 v23, 31, v21
	v_alignbit_b32 v4, v6, v4, v23
	v_lshlrev_b32_e32 v6, 31, v27
	v_or_b32_e32 v23, 0x33800000, v6
	v_add_lshl_u32 v21, v21, v22, 23
	v_lshrrev_b32_e32 v4, 9, v4
	v_sub_u32_e32 v21, v23, v21
	v_or_b32_e32 v4, v21, v4
	v_alignbit_b32 v21, v22, v24, 9
	v_or_b32_e32 v6, v21, v6
	v_xor_b32_e32 v6, 1.0, v6
	v_mul_f32_e32 v21, 0x3fc90fda, v6
	v_fma_f32 v22, v6, s30, -v21
	v_fmac_f32_e32 v22, 0x33a22168, v6
	v_fmac_f32_e32 v22, 0x3fc90fda, v4
	v_lshrrev_b32_e32 v2, 30, v2
	v_add_f32_e32 v22, v21, v22
	v_add_u32_e32 v21, v28, v2
                                        ; implicit-def: $vgpr2
	s_andn2_saveexec_b64 s[8:9], s[16:17]
	s_cbranch_execnz .LBB2_9
	s_branch .LBB2_10
.LBB2_8:                                ;   in Loop: Header=BB2_2 Depth=1
	s_andn2_saveexec_b64 s[8:9], s[16:17]
.LBB2_9:                                ;   in Loop: Header=BB2_2 Depth=1
	v_cvt_i32_f32_e32 v21, v2
	v_fma_f32 v22, v2, s34, |v5|
	v_fmac_f32_e32 v22, 0xb3a22168, v2
	v_fmac_f32_e32 v22, 0xa7c234c4, v2
.LBB2_10:                               ;   in Loop: Header=BB2_2 Depth=1
	s_or_b64 exec, exec, s[8:9]
	v_mov_b32_e32 v2, s51
	v_add_co_u32_e32 v24, vcc, s50, v0
	v_addc_co_u32_e32 v25, vcc, v2, v1, vcc
	global_load_dword v23, v[24:25], off
                                        ; implicit-def: $vgpr25
                                        ; implicit-def: $vgpr26
	s_waitcnt vmcnt(0)
	v_and_b32_e32 v24, 0x7fffffff, v23
	v_lshrrev_b32_e32 v2, 23, v24
	v_and_b32_e32 v4, 0x7fffff, v24
	v_cmp_nlt_f32_e64 s[16:17], |v23|, s22
	v_add_u32_e32 v28, 0xffffff88, v2
	v_or_b32_e32 v4, 0x800000, v4
	s_and_saveexec_b64 s[8:9], s[16:17]
	s_xor_b64 s[18:19], exec, s[8:9]
	s_cbranch_execz .LBB2_12
; %bb.11:                               ;   in Loop: Header=BB2_2 Depth=1
	v_cmp_lt_u32_e32 vcc, 63, v28
	v_cndmask_b32_e32 v2, 0, v16, vcc
	v_add_u32_e32 v2, v2, v28
	v_cmp_lt_u32_e64 s[8:9], 31, v2
	v_cndmask_b32_e64 v6, 0, v17, s[8:9]
	v_add_u32_e32 v2, v6, v2
	v_cmp_lt_u32_e64 s[10:11], 31, v2
	v_cndmask_b32_e64 v6, 0, v17, s[10:11]
	v_mad_u64_u32 v[26:27], s[12:13], v4, s23, 0
	v_add_u32_e32 v6, v6, v2
	v_mov_b32_e32 v2, v27
	v_mad_u64_u32 v[30:31], s[12:13], v4, s24, v[2:3]
	v_mov_b32_e32 v2, v31
	v_mad_u64_u32 v[32:33], s[12:13], v4, s25, v[2:3]
	;; [unrolled: 2-line block ×6, first 2 shown]
	v_cndmask_b32_e32 v25, v38, v34, vcc
	v_cndmask_b32_e32 v2, v40, v36, vcc
	;; [unrolled: 1-line block ×3, first 2 shown]
	v_cndmask_b32_e64 v27, v2, v25, s[8:9]
	v_cndmask_b32_e64 v2, v29, v2, s[8:9]
	v_cndmask_b32_e32 v29, v36, v32, vcc
	v_cndmask_b32_e64 v25, v25, v29, s[8:9]
	v_sub_u32_e32 v31, 32, v6
	v_cmp_eq_u32_e64 s[12:13], 0, v6
	v_cndmask_b32_e32 v6, v34, v30, vcc
	v_cndmask_b32_e64 v2, v2, v27, s[10:11]
	v_cndmask_b32_e64 v27, v27, v25, s[10:11]
	;; [unrolled: 1-line block ×3, first 2 shown]
	v_alignbit_b32 v33, v2, v27, v31
	v_cndmask_b32_e64 v25, v25, v29, s[10:11]
	v_cndmask_b32_e32 v26, v32, v26, vcc
	v_cndmask_b32_e64 v2, v33, v2, s[12:13]
	v_alignbit_b32 v30, v27, v25, v31
	v_cndmask_b32_e64 v6, v6, v26, s[8:9]
	v_cndmask_b32_e64 v27, v30, v27, s[12:13]
	v_bfe_u32 v34, v2, 29, 1
	v_cndmask_b32_e64 v6, v29, v6, s[10:11]
	v_alignbit_b32 v30, v2, v27, 30
	v_sub_u32_e32 v35, 0, v34
	v_alignbit_b32 v26, v25, v6, v31
	v_xor_b32_e32 v36, v30, v35
	v_cndmask_b32_e64 v25, v26, v25, s[12:13]
	v_alignbit_b32 v26, v27, v25, 30
	v_ffbh_u32_e32 v27, v36
	v_add_u32_e32 v27, 1, v27
	v_cmp_ne_u32_e32 vcc, v30, v35
	v_cndmask_b32_e32 v27, 33, v27, vcc
	v_alignbit_b32 v6, v25, v6, 30
	v_xor_b32_e32 v26, v26, v35
	v_sub_u32_e32 v29, 32, v27
	v_xor_b32_e32 v6, v6, v35
	v_alignbit_b32 v30, v36, v26, v29
	v_alignbit_b32 v6, v26, v6, v29
	;; [unrolled: 1-line block ×3, first 2 shown]
	v_ffbh_u32_e32 v26, v25
	v_min_u32_e32 v26, 32, v26
	v_lshrrev_b32_e32 v33, 29, v2
	v_sub_u32_e32 v29, 31, v26
	v_alignbit_b32 v6, v25, v6, v29
	v_lshlrev_b32_e32 v25, 31, v33
	v_or_b32_e32 v29, 0x33800000, v25
	v_add_lshl_u32 v26, v26, v27, 23
	v_lshrrev_b32_e32 v6, 9, v6
	v_sub_u32_e32 v26, v29, v26
	v_or_b32_e32 v6, v26, v6
	v_alignbit_b32 v26, v27, v30, 9
	v_or_b32_e32 v25, v26, v25
	v_xor_b32_e32 v25, 1.0, v25
	v_mul_f32_e32 v26, 0x3fc90fda, v25
	v_fma_f32 v27, v25, s30, -v26
	v_fmac_f32_e32 v27, 0x33a22168, v25
	v_fmac_f32_e32 v27, 0x3fc90fda, v6
	v_lshrrev_b32_e32 v2, 30, v2
	v_add_f32_e32 v26, v26, v27
	v_add_u32_e32 v25, v34, v2
.LBB2_12:                               ;   in Loop: Header=BB2_2 Depth=1
	s_or_saveexec_b64 s[8:9], s[18:19]
	v_mul_f32_e64 v2, |v23|, s31
	v_rndne_f32_e32 v2, v2
	s_xor_b64 exec, exec, s[8:9]
; %bb.13:                               ;   in Loop: Header=BB2_2 Depth=1
	v_cvt_i32_f32_e32 v25, v2
	v_fma_f32 v26, v2, s34, |v23|
	v_fmac_f32_e32 v26, 0xb3a22168, v2
	v_fmac_f32_e32 v26, 0xa7c234c4, v2
; %bb.14:                               ;   in Loop: Header=BB2_2 Depth=1
	s_or_b64 exec, exec, s[8:9]
                                        ; implicit-def: $vgpr6
                                        ; implicit-def: $vgpr27
	s_and_saveexec_b64 s[8:9], s[16:17]
	s_xor_b64 s[16:17], exec, s[8:9]
	s_cbranch_execz .LBB2_16
; %bb.15:                               ;   in Loop: Header=BB2_2 Depth=1
	v_cmp_lt_u32_e32 vcc, 63, v28
	v_cndmask_b32_e32 v2, 0, v16, vcc
	v_add_u32_e32 v2, v2, v28
	v_cmp_lt_u32_e64 s[8:9], 31, v2
	v_cndmask_b32_e64 v6, 0, v17, s[8:9]
	v_add_u32_e32 v2, v6, v2
	v_cmp_lt_u32_e64 s[10:11], 31, v2
	v_cndmask_b32_e64 v6, 0, v17, s[10:11]
	v_mad_u64_u32 v[28:29], s[12:13], v4, s23, 0
	v_add_u32_e32 v6, v6, v2
	v_mov_b32_e32 v2, v29
	v_mad_u64_u32 v[30:31], s[12:13], v4, s24, v[2:3]
	v_mov_b32_e32 v2, v31
	v_mad_u64_u32 v[32:33], s[12:13], v4, s25, v[2:3]
	;; [unrolled: 2-line block ×6, first 2 shown]
	v_cndmask_b32_e32 v27, v38, v34, vcc
	v_cndmask_b32_e32 v2, v40, v36, vcc
	;; [unrolled: 1-line block ×3, first 2 shown]
	v_cndmask_b32_e64 v4, v2, v27, s[8:9]
	v_cndmask_b32_e64 v2, v29, v2, s[8:9]
	v_cndmask_b32_e32 v29, v36, v32, vcc
	v_cndmask_b32_e64 v27, v27, v29, s[8:9]
	v_sub_u32_e32 v31, 32, v6
	v_cmp_eq_u32_e64 s[12:13], 0, v6
	v_cndmask_b32_e32 v6, v34, v30, vcc
	v_cndmask_b32_e64 v2, v2, v4, s[10:11]
	v_cndmask_b32_e64 v4, v4, v27, s[10:11]
	;; [unrolled: 1-line block ×3, first 2 shown]
	v_alignbit_b32 v33, v2, v4, v31
	v_cndmask_b32_e64 v27, v27, v29, s[10:11]
	v_cndmask_b32_e64 v2, v33, v2, s[12:13]
	v_alignbit_b32 v30, v4, v27, v31
	v_cndmask_b32_e32 v28, v32, v28, vcc
	v_cndmask_b32_e64 v4, v30, v4, s[12:13]
	v_bfe_u32 v34, v2, 29, 1
	v_cndmask_b32_e64 v6, v6, v28, s[8:9]
	v_alignbit_b32 v30, v2, v4, 30
	v_sub_u32_e32 v35, 0, v34
	v_cndmask_b32_e64 v6, v29, v6, s[10:11]
	v_xor_b32_e32 v36, v30, v35
	v_alignbit_b32 v28, v27, v6, v31
	v_cndmask_b32_e64 v27, v28, v27, s[12:13]
	v_ffbh_u32_e32 v28, v36
	v_add_u32_e32 v28, 1, v28
	v_cmp_ne_u32_e32 vcc, v30, v35
	v_alignbit_b32 v4, v4, v27, 30
	v_cndmask_b32_e32 v28, 33, v28, vcc
	v_alignbit_b32 v6, v27, v6, 30
	v_xor_b32_e32 v4, v4, v35
	v_sub_u32_e32 v29, 32, v28
	v_xor_b32_e32 v6, v6, v35
	v_alignbit_b32 v30, v36, v4, v29
	v_alignbit_b32 v4, v4, v6, v29
	;; [unrolled: 1-line block ×3, first 2 shown]
	v_ffbh_u32_e32 v27, v6
	v_min_u32_e32 v27, 32, v27
	v_lshrrev_b32_e32 v33, 29, v2
	v_sub_u32_e32 v29, 31, v27
	v_alignbit_b32 v4, v6, v4, v29
	v_lshlrev_b32_e32 v6, 31, v33
	v_or_b32_e32 v29, 0x33800000, v6
	v_add_lshl_u32 v27, v27, v28, 23
	v_lshrrev_b32_e32 v4, 9, v4
	v_sub_u32_e32 v27, v29, v27
	v_or_b32_e32 v4, v27, v4
	v_alignbit_b32 v27, v28, v30, 9
	v_or_b32_e32 v6, v27, v6
	v_xor_b32_e32 v6, 1.0, v6
	v_mul_f32_e32 v27, 0x3fc90fda, v6
	v_fma_f32 v28, v6, s30, -v27
	v_fmac_f32_e32 v28, 0x33a22168, v6
	v_fmac_f32_e32 v28, 0x3fc90fda, v4
	v_lshrrev_b32_e32 v2, 30, v2
	v_add_f32_e32 v27, v27, v28
	v_add_u32_e32 v6, v34, v2
                                        ; implicit-def: $vgpr2
	s_andn2_saveexec_b64 s[8:9], s[16:17]
	s_cbranch_execnz .LBB2_17
	s_branch .LBB2_18
.LBB2_16:                               ;   in Loop: Header=BB2_2 Depth=1
	s_andn2_saveexec_b64 s[8:9], s[16:17]
.LBB2_17:                               ;   in Loop: Header=BB2_2 Depth=1
	v_cvt_i32_f32_e32 v6, v2
	v_fma_f32 v27, v2, s34, |v23|
	v_fmac_f32_e32 v27, 0xb3a22168, v2
	v_fmac_f32_e32 v27, 0xa7c234c4, v2
.LBB2_18:                               ;   in Loop: Header=BB2_2 Depth=1
	s_or_b64 exec, exec, s[8:9]
	v_mov_b32_e32 v2, s53
	v_add_co_u32_e32 v28, vcc, s52, v0
	v_addc_co_u32_e32 v29, vcc, v2, v1, vcc
	global_load_dword v4, v[28:29], off
                                        ; implicit-def: $vgpr30
                                        ; implicit-def: $vgpr31
	s_waitcnt vmcnt(0)
	v_and_b32_e32 v28, 0x7fffffff, v4
	v_lshrrev_b32_e32 v2, 23, v28
	v_and_b32_e32 v29, 0x7fffff, v28
	v_cmp_nlt_f32_e64 s[16:17], |v4|, s22
	v_add_u32_e32 v33, 0xffffff88, v2
	v_or_b32_e32 v32, 0x800000, v29
	s_and_saveexec_b64 s[8:9], s[16:17]
	s_xor_b64 s[18:19], exec, s[8:9]
	s_cbranch_execz .LBB2_20
; %bb.19:                               ;   in Loop: Header=BB2_2 Depth=1
	v_cmp_lt_u32_e32 vcc, 63, v33
	v_cndmask_b32_e32 v2, 0, v16, vcc
	v_add_u32_e32 v2, v2, v33
	v_cmp_lt_u32_e64 s[8:9], 31, v2
	v_cndmask_b32_e64 v29, 0, v17, s[8:9]
	v_add_u32_e32 v2, v29, v2
	v_cmp_lt_u32_e64 s[10:11], 31, v2
	v_cndmask_b32_e64 v29, 0, v17, s[10:11]
	v_mad_u64_u32 v[30:31], s[12:13], v32, s23, 0
	v_add_u32_e32 v29, v29, v2
	v_mov_b32_e32 v2, v31
	v_mad_u64_u32 v[34:35], s[12:13], v32, s24, v[2:3]
	v_mov_b32_e32 v2, v35
	v_mad_u64_u32 v[36:37], s[12:13], v32, s25, v[2:3]
	;; [unrolled: 2-line block ×6, first 2 shown]
	v_cndmask_b32_e32 v31, v42, v38, vcc
	v_cndmask_b32_e32 v2, v46, v40, vcc
	;; [unrolled: 1-line block ×3, first 2 shown]
	v_cndmask_b32_e64 v35, v2, v31, s[8:9]
	v_cndmask_b32_e64 v2, v37, v2, s[8:9]
	v_cndmask_b32_e32 v37, v40, v36, vcc
	v_cndmask_b32_e64 v31, v31, v37, s[8:9]
	v_sub_u32_e32 v39, 32, v29
	v_cmp_eq_u32_e64 s[12:13], 0, v29
	v_cndmask_b32_e32 v29, v38, v34, vcc
	v_cndmask_b32_e64 v2, v2, v35, s[10:11]
	v_cndmask_b32_e64 v35, v35, v31, s[10:11]
	;; [unrolled: 1-line block ×3, first 2 shown]
	v_alignbit_b32 v40, v2, v35, v39
	v_cndmask_b32_e64 v31, v31, v34, s[10:11]
	v_cndmask_b32_e64 v2, v40, v2, s[12:13]
	v_alignbit_b32 v37, v35, v31, v39
	v_cndmask_b32_e64 v35, v37, v35, s[12:13]
	v_bfe_u32 v40, v2, 29, 1
	v_cndmask_b32_e32 v30, v36, v30, vcc
	v_alignbit_b32 v37, v2, v35, 30
	v_sub_u32_e32 v41, 0, v40
	v_cndmask_b32_e64 v29, v29, v30, s[8:9]
	v_xor_b32_e32 v42, v37, v41
	v_cndmask_b32_e64 v29, v34, v29, s[10:11]
	v_alignbit_b32 v30, v31, v29, v39
	v_ffbh_u32_e32 v34, v42
	v_cndmask_b32_e64 v30, v30, v31, s[12:13]
	v_add_u32_e32 v34, 1, v34
	v_cmp_ne_u32_e32 vcc, v37, v41
	v_alignbit_b32 v31, v35, v30, 30
	v_cndmask_b32_e32 v34, 33, v34, vcc
	v_alignbit_b32 v29, v30, v29, 30
	v_xor_b32_e32 v31, v31, v41
	v_sub_u32_e32 v35, 32, v34
	v_xor_b32_e32 v29, v29, v41
	v_alignbit_b32 v36, v42, v31, v35
	v_alignbit_b32 v29, v31, v29, v35
	;; [unrolled: 1-line block ×3, first 2 shown]
	v_ffbh_u32_e32 v31, v30
	v_min_u32_e32 v31, 32, v31
	v_lshrrev_b32_e32 v38, 29, v2
	v_sub_u32_e32 v35, 31, v31
	v_alignbit_b32 v29, v30, v29, v35
	v_lshlrev_b32_e32 v30, 31, v38
	v_or_b32_e32 v35, 0x33800000, v30
	v_add_lshl_u32 v31, v31, v34, 23
	v_lshrrev_b32_e32 v29, 9, v29
	v_sub_u32_e32 v31, v35, v31
	v_or_b32_e32 v29, v31, v29
	v_alignbit_b32 v31, v34, v36, 9
	v_or_b32_e32 v30, v31, v30
	v_xor_b32_e32 v30, 1.0, v30
	v_mul_f32_e32 v31, 0x3fc90fda, v30
	v_fma_f32 v34, v30, s30, -v31
	v_fmac_f32_e32 v34, 0x33a22168, v30
	v_fmac_f32_e32 v34, 0x3fc90fda, v29
	v_lshrrev_b32_e32 v2, 30, v2
	v_add_f32_e32 v31, v31, v34
	v_add_u32_e32 v30, v40, v2
.LBB2_20:                               ;   in Loop: Header=BB2_2 Depth=1
	s_or_saveexec_b64 s[8:9], s[18:19]
	v_mul_f32_e64 v2, |v4|, s31
	v_rndne_f32_e32 v34, v2
	s_xor_b64 exec, exec, s[8:9]
; %bb.21:                               ;   in Loop: Header=BB2_2 Depth=1
	v_cvt_i32_f32_e32 v30, v34
	v_fma_f32 v31, v34, s34, |v4|
	v_fmac_f32_e32 v31, 0xb3a22168, v34
	v_fmac_f32_e32 v31, 0xa7c234c4, v34
; %bb.22:                               ;   in Loop: Header=BB2_2 Depth=1
	s_or_b64 exec, exec, s[8:9]
                                        ; implicit-def: $vgpr2
                                        ; implicit-def: $vgpr29
	s_and_saveexec_b64 s[8:9], s[16:17]
	s_xor_b64 s[16:17], exec, s[8:9]
	s_cbranch_execz .LBB2_24
; %bb.23:                               ;   in Loop: Header=BB2_2 Depth=1
	v_cmp_lt_u32_e32 vcc, 63, v33
	v_cndmask_b32_e32 v2, 0, v16, vcc
	v_add_u32_e32 v2, v2, v33
	v_cmp_lt_u32_e64 s[8:9], 31, v2
	v_cndmask_b32_e64 v29, 0, v17, s[8:9]
	v_add_u32_e32 v2, v29, v2
	v_cmp_lt_u32_e64 s[10:11], 31, v2
	v_cndmask_b32_e64 v29, 0, v17, s[10:11]
	v_mad_u64_u32 v[34:35], s[12:13], v32, s23, 0
	v_add_u32_e32 v29, v29, v2
	v_mov_b32_e32 v2, v35
	v_mad_u64_u32 v[36:37], s[12:13], v32, s24, v[2:3]
	v_mov_b32_e32 v2, v37
	v_mad_u64_u32 v[38:39], s[12:13], v32, s25, v[2:3]
	;; [unrolled: 2-line block ×6, first 2 shown]
	v_cndmask_b32_e32 v35, v46, v40, vcc
	v_cndmask_b32_e32 v2, v32, v42, vcc
	;; [unrolled: 1-line block ×3, first 2 shown]
	v_cndmask_b32_e64 v32, v2, v35, s[8:9]
	v_cndmask_b32_e64 v2, v33, v2, s[8:9]
	v_cndmask_b32_e32 v33, v42, v38, vcc
	v_cndmask_b32_e64 v35, v35, v33, s[8:9]
	v_sub_u32_e32 v37, 32, v29
	v_cmp_eq_u32_e64 s[12:13], 0, v29
	v_cndmask_b32_e32 v29, v40, v36, vcc
	v_cndmask_b32_e64 v2, v2, v32, s[10:11]
	v_cndmask_b32_e64 v32, v32, v35, s[10:11]
	;; [unrolled: 1-line block ×3, first 2 shown]
	v_alignbit_b32 v39, v2, v32, v37
	v_cndmask_b32_e64 v35, v35, v33, s[10:11]
	v_cndmask_b32_e64 v2, v39, v2, s[12:13]
	v_alignbit_b32 v36, v32, v35, v37
	v_cndmask_b32_e64 v32, v36, v32, s[12:13]
	v_bfe_u32 v40, v2, 29, 1
	v_cndmask_b32_e32 v34, v38, v34, vcc
	v_alignbit_b32 v36, v2, v32, 30
	v_sub_u32_e32 v41, 0, v40
	v_cndmask_b32_e64 v29, v29, v34, s[8:9]
	v_xor_b32_e32 v42, v36, v41
	v_cndmask_b32_e64 v29, v33, v29, s[10:11]
	v_alignbit_b32 v33, v35, v29, v37
	v_ffbh_u32_e32 v34, v42
	v_cndmask_b32_e64 v33, v33, v35, s[12:13]
	v_add_u32_e32 v34, 1, v34
	v_cmp_ne_u32_e32 vcc, v36, v41
	v_alignbit_b32 v32, v32, v33, 30
	v_cndmask_b32_e32 v34, 33, v34, vcc
	v_alignbit_b32 v29, v33, v29, 30
	v_xor_b32_e32 v32, v32, v41
	v_sub_u32_e32 v35, 32, v34
	v_xor_b32_e32 v29, v29, v41
	v_alignbit_b32 v36, v42, v32, v35
	v_alignbit_b32 v29, v32, v29, v35
	;; [unrolled: 1-line block ×3, first 2 shown]
	v_ffbh_u32_e32 v33, v32
	v_min_u32_e32 v33, 32, v33
	v_lshrrev_b32_e32 v39, 29, v2
	v_sub_u32_e32 v35, 31, v33
	v_alignbit_b32 v29, v32, v29, v35
	v_lshlrev_b32_e32 v32, 31, v39
	v_or_b32_e32 v35, 0x33800000, v32
	v_add_lshl_u32 v33, v33, v34, 23
	v_lshrrev_b32_e32 v29, 9, v29
	v_sub_u32_e32 v33, v35, v33
	v_or_b32_e32 v29, v33, v29
	v_alignbit_b32 v33, v34, v36, 9
	v_or_b32_e32 v32, v33, v32
	v_xor_b32_e32 v32, 1.0, v32
	v_mul_f32_e32 v33, 0x3fc90fda, v32
	v_fma_f32 v34, v32, s30, -v33
	v_fmac_f32_e32 v34, 0x33a22168, v32
	v_fmac_f32_e32 v34, 0x3fc90fda, v29
	v_lshrrev_b32_e32 v2, 30, v2
	v_add_f32_e32 v29, v33, v34
	v_add_u32_e32 v2, v40, v2
                                        ; implicit-def: $vgpr34
	s_andn2_saveexec_b64 s[8:9], s[16:17]
	s_cbranch_execz .LBB2_1
	s_branch .LBB2_25
.LBB2_24:                               ;   in Loop: Header=BB2_2 Depth=1
	s_andn2_saveexec_b64 s[8:9], s[16:17]
	s_cbranch_execz .LBB2_1
.LBB2_25:                               ;   in Loop: Header=BB2_2 Depth=1
	v_cvt_i32_f32_e32 v2, v34
	v_fma_f32 v29, v34, s34, |v4|
	v_fmac_f32_e32 v29, 0xb3a22168, v34
	v_fmac_f32_e32 v29, 0xa7c234c4, v34
	s_branch .LBB2_1
.LBB2_26:
	buffer_load_dword v9, off, s[0:3], 0
	buffer_load_dword v46, off, s[0:3], 0 offset:4
	buffer_load_dword v12, off, s[0:3], 0 offset:8
	;; [unrolled: 1-line block ×47, first 2 shown]
	s_load_dwordx2 s[8:9], s[4:5], 0x0
	s_load_dwordx4 s[48:51], s[4:5], 0x48
	s_mov_b32 s55, 0
	v_mov_b32_e32 v75, 0
	s_movk_i32 s61, 0x46
	s_waitcnt lgkmcnt(0)
	s_max_i32 s57, s9, 1
	s_max_i32 s60, s8, 1
	s_add_u32 s52, s44, 8
	s_addc_u32 s53, s45, 0
	s_movk_i32 s62, 0x45
	s_mov_b32 s63, 0xf800000
	v_mov_b32_e32 v76, 0x260
	s_mov_b32 s56, 0x42340000
	v_mov_b32_e32 v77, 0x40b00000
	v_mov_b32_e32 v78, 0xff7fffff
	;; [unrolled: 1-line block ×4, first 2 shown]
	s_mov_b32 s54, s55
.LBB2_27:                               ; =>This Loop Header: Depth=1
                                        ;     Child Loop BB2_28 Depth 2
	s_lshl_b64 s[4:5], s[54:55], 4
	s_add_u32 s4, s46, s4
	s_addc_u32 s5, s47, s5
	global_load_dwordx4 v[4:7], v75, s[4:5]
	v_mov_b32_e32 v2, s51
	s_mov_b32 s64, s57
	s_mov_b64 s[58:59], s[52:53]
	s_waitcnt vmcnt(0)
	v_ashrrev_i32_e32 v1, 31, v7
	v_mov_b32_e32 v0, v7
	v_lshlrev_b64 v[0:1], 4, v[0:1]
	v_add_co_u32_e32 v0, vcc, s50, v0
	v_addc_co_u32_e32 v1, vcc, v2, v1, vcc
	global_load_dwordx4 v[0:3], v[0:1], off
	v_pk_mul_f32 v[30:31], v[4:5], v[20:21]
	v_fma_f32 v36, v4, v48, v50
	v_fma_f32 v32, v4, v9, v47
	;; [unrolled: 1-line block ×8, first 2 shown]
	v_pk_fma_f32 v[38:39], v[4:5], v[22:23], v[26:27] op_sel_hi:[0,1,1]
	v_fma_f32 v84, v4, v71, v73
	v_add_f32_e32 v7, v58, v30
	v_fmac_f32_e32 v32, v5, v46
	v_fmac_f32_e32 v36, v5, v49
	;; [unrolled: 1-line block ×3, first 2 shown]
	v_pk_fma_f32 v[34:35], v[4:5], v[16:17], v[34:35] op_sel:[1,0,0]
	v_fmac_f32_e32 v81, v5, v60
	v_fmac_f32_e32 v82, v5, v62
	;; [unrolled: 1-line block ×3, first 2 shown]
	v_pk_fma_f32 v[38:39], v[4:5], v[24:25], v[38:39] op_sel:[1,0,0]
	v_fmac_f32_e32 v84, v5, v72
	v_add_f32_e32 v37, v7, v31
	v_pk_fma_f32 v[30:31], v[6:7], v[12:13], v[32:33] op_sel_hi:[0,1,1]
	v_pk_fma_f32 v[32:33], v[6:7], v[18:19], v[34:35] op_sel_hi:[0,1,1]
	v_fmac_f32_e32 v81, v6, v66
	v_fmac_f32_e32 v82, v6, v64
	;; [unrolled: 1-line block ×3, first 2 shown]
	v_pk_fma_f32 v[34:35], v[6:7], v[28:29], v[38:39] op_sel_hi:[0,1,1]
	v_fmac_f32_e32 v84, v6, v74
	v_pk_fma_f32 v[36:37], v[6:7], v[14:15], v[36:37] op_sel_hi:[0,1,1]
	s_waitcnt vmcnt(0)
	v_cmp_gt_f32_e64 s[12:13], 0, v2
	v_cmp_lt_f32_e64 s[4:5], 0, v2
	v_cmp_eq_u32_e64 s[8:9], s61, v0
	v_cmp_eq_u32_e64 s[10:11], s62, v0
	v_cndmask_b32_e64 v85, 1.0, v77, s[12:13]
	v_cndmask_b32_e64 v86, v78, 1.0, s[12:13]
	v_mov_b32_e32 v38, v3
.LBB2_28:                               ;   Parent Loop BB2_27 Depth=1
                                        ; =>  This Inner Loop Header: Depth=2
	global_load_dwordx4 v[4:7], v75, s[58:59] offset:-8
	v_mov_b32_e32 v0, s51
	s_waitcnt vmcnt(0)
	v_ashrrev_i32_e32 v41, 31, v7
	v_mov_b32_e32 v40, v7
	v_sub_f32_e32 v87, v81, v4
	v_sub_f32_e32 v90, v82, v5
	v_pk_add_f32 v[42:43], v[34:35], v[4:5] neg_lo:[0,1] neg_hi:[0,1]
	v_pk_add_f32 v[88:89], v[30:31], v[4:5] op_sel_hi:[1,0] neg_lo:[0,1] neg_hi:[0,1]
	v_pk_add_f32 v[4:5], v[36:37], v[4:5] op_sel:[0,1] neg_lo:[0,1] neg_hi:[0,1]
	v_lshlrev_b64 v[40:41], 4, v[40:41]
	v_pk_mul_f32 v[4:5], v[4:5], v[4:5]
	v_add_co_u32_e32 v40, vcc, s50, v40
	v_sub_f32_e32 v3, v83, v6
	v_sub_f32_e32 v39, v84, v6
	v_pk_add_f32 v[6:7], v[32:33], v[6:7] op_sel_hi:[1,0] neg_lo:[0,1] neg_hi:[0,1]
	v_mul_f32_e32 v90, v90, v90
	v_pk_mul_f32 v[42:43], v[42:43], v[42:43]
	v_pk_fma_f32 v[4:5], v[88:89], v[88:89], v[4:5]
	v_addc_co_u32_e32 v41, vcc, v0, v41, vcc
	v_fmac_f32_e32 v90, v87, v87
	v_add_f32_e32 v87, v42, v43
	v_pk_fma_f32 v[42:43], v[6:7], v[6:7], v[4:5]
	global_load_dwordx4 v[4:7], v[40:41], off
	v_fmac_f32_e32 v90, v3, v3
	v_fmac_f32_e32 v87, v39, v39
	v_mul_f32_e32 v0, 0x4f800000, v90
	v_mul_f32_e32 v39, 0x4f800000, v43
	v_cmp_gt_f32_e64 s[14:15], s63, v43
	v_cmp_gt_f32_e64 s[18:19], s63, v90
	v_mul_f32_e32 v3, 0x4f800000, v87
	v_cmp_gt_f32_e32 vcc, s63, v87
	v_mul_f32_e32 v40, 0x4f800000, v42
	v_cmp_gt_f32_e64 s[16:17], s63, v42
	v_cndmask_b32_e64 v0, v90, v0, s[18:19]
	v_cndmask_b32_e64 v39, v43, v39, s[14:15]
	v_cndmask_b32_e32 v3, v87, v3, vcc
	v_cndmask_b32_e64 v40, v42, v40, s[16:17]
	v_sqrt_f32_e32 v41, v0
	v_sqrt_f32_e32 v43, v39
	;; [unrolled: 1-line block ×4, first 2 shown]
	v_add_u32_e32 v88, -1, v41
	v_add_u32_e32 v92, -1, v43
	v_add_u32_e32 v89, 1, v41
	v_add_u32_e32 v90, -1, v42
	v_add_u32_e32 v93, 1, v43
	v_add_u32_e32 v94, -1, v87
	v_fma_f32 v96, -v88, v41, v0
	v_fma_f32 v100, -v92, v43, v39
	v_add_u32_e32 v91, 1, v42
	v_add_u32_e32 v95, 1, v87
	v_fma_f32 v97, -v89, v41, v0
	v_fma_f32 v98, -v90, v42, v3
	;; [unrolled: 1-line block ×4, first 2 shown]
	v_cmp_ge_f32_e64 s[28:29], 0, v96
	v_cmp_ge_f32_e64 s[36:37], 0, v100
	v_fma_f32 v99, -v91, v42, v3
	v_fma_f32 v103, -v95, v87, v40
	v_cmp_ge_f32_e64 s[30:31], 0, v98
	v_cmp_lt_f32_e64 s[38:39], 0, v101
	v_cmp_ge_f32_e64 s[40:41], 0, v102
	v_cmp_lt_f32_e64 s[44:45], 0, v97
	v_cndmask_b32_e64 v41, v41, v88, s[28:29]
	v_cndmask_b32_e64 v43, v43, v92, s[36:37]
	v_cmp_lt_f32_e64 s[34:35], 0, v99
	v_cmp_lt_f32_e64 s[42:43], 0, v103
	v_cndmask_b32_e64 v42, v42, v90, s[30:31]
	v_cndmask_b32_e64 v87, v87, v94, s[40:41]
	;; [unrolled: 1-line block ×6, first 2 shown]
	v_mul_f32_e32 v88, 0x37800000, v41
	v_mul_f32_e32 v90, 0x37800000, v43
	v_cmp_class_f32_e64 s[22:23], v39, v76
	v_cmp_class_f32_e64 s[26:27], v0, v76
	v_mul_f32_e32 v89, 0x37800000, v42
	v_mul_f32_e32 v91, 0x37800000, v87
	v_cndmask_b32_e64 v41, v41, v88, s[18:19]
	v_cndmask_b32_e64 v43, v43, v90, s[14:15]
	v_cmp_class_f32_e64 s[20:21], v3, v76
	v_cmp_class_f32_e64 s[24:25], v40, v76
	v_cndmask_b32_e32 v42, v42, v89, vcc
	v_cndmask_b32_e64 v87, v87, v91, s[16:17]
	v_cndmask_b32_e64 v89, v41, v0, s[26:27]
	;; [unrolled: 1-line block ×5, first 2 shown]
	s_waitcnt vmcnt(0)
	v_add_f32_e32 v0, v1, v5
	v_cmp_gt_f32_e64 s[22:23], 0, v6
	v_cmp_eq_u32_e64 s[18:19], s61, v4
	v_cmp_eq_u32_e64 s[16:17], s62, v4
	v_cmp_lt_f32_e64 s[20:21], 0, v6
	v_cndmask_b32_e64 v87, v86, v85, s[22:23]
	v_div_scale_f32 v96, s[24:25], v0, v0, 1.0
	s_and_b64 s[18:19], s[18:19], s[8:9]
	s_and_b64 s[22:23], s[22:23], s[4:5]
	;; [unrolled: 1-line block ×3, first 2 shown]
	s_or_b64 s[44:45], s[16:17], s[10:11]
	v_div_scale_f32 v100, s[16:17], v87, v87, 1.0
	v_rcp_f32_e32 v102, v96
	v_cmp_neq_f32_e64 s[14:15], 0, v6
	v_mov_b32_e32 v42, v7
	v_sub_f32_e32 v98, v89, v0
	v_sub_f32_e32 v99, v3, v0
	v_pk_add_f32 v[4:5], v[40:41], v[0:1] op_sel_hi:[1,0] neg_lo:[0,1] neg_hi:[0,1]
	v_cndmask_b32_e64 v7, 2.0, 4.0, s[18:19]
	v_cndmask_b32_e64 v39, v6, -v6, s[22:23]
	v_cndmask_b32_e64 v43, v2, -v2, s[20:21]
	v_cndmask_b32_e64 v6, 0.5, v79, s[18:19]
	v_rcp_f32_e32 v103, v100
	v_cmp_gt_f32_e64 s[18:19], 0, v98
	v_cmp_gt_f32_e64 s[16:17], 0, v99
	;; [unrolled: 1-line block ×4, first 2 shown]
	v_add_f32_e32 v88, v39, v43
	v_cmp_lt_f32_e64 s[36:37], v98, v7
	v_cmp_lt_f32_e64 s[38:39], v99, v7
	;; [unrolled: 1-line block ×4, first 2 shown]
	v_fma_f32 v43, -v6, v98, 1.0
	v_fma_f32 v106, -v6, v99, 1.0
	v_pk_fma_f32 v[6:7], v[6:7], v[4:5], 1.0 op_sel_hi:[0,1,0] neg_lo:[1,0,0] neg_hi:[1,0,0]
	v_cndmask_b32_e64 v107, 0, 1.0, s[36:37]
	v_cndmask_b32_e64 v39, 0, 1.0, s[38:39]
	;; [unrolled: 1-line block ×8, first 2 shown]
	v_mul_f32_e32 v107, v107, v110
	v_pk_mul_f32 v[42:43], v[38:39], v[42:43]
	v_pk_mul_f32 v[6:7], v[92:93], v[6:7]
	v_fma_f32 v39, -v96, v102, 1.0
	v_div_scale_f32 v97, vcc, 1.0, v0, 1.0
	v_pk_mul_f32 v[6:7], v[42:43], v[6:7] op_sel_hi:[0,1]
	v_mul_f32_e32 v92, v42, v107
	v_mul_f32_e32 v42, v42, v43
	v_fma_f32 v43, -v100, v103, 1.0
	v_fmac_f32_e32 v102, v39, v102
	v_div_scale_f32 v101, s[20:21], 1.0, v87, 1.0
	v_cndmask_b32_e64 v39, v92, -|v92|, s[44:45]
	v_cndmask_b32_e64 v92, v42, -|v42|, s[44:45]
	v_fmac_f32_e32 v103, v43, v103
	v_mul_f32_e32 v42, v97, v102
	v_mul_f32_e32 v43, v101, v103
	v_fma_f32 v93, -v96, v42, v97
	v_fma_f32 v107, -v100, v43, v101
	v_fmac_f32_e32 v42, v93, v102
	v_fmac_f32_e32 v43, v107, v103
	v_fma_f32 v93, -v96, v42, v97
	v_fma_f32 v96, -v100, v43, v101
	v_div_fmas_f32 v42, v93, v102, v42
	s_mov_b64 vcc, s[20:21]
	v_cmp_lt_f32_e64 s[22:23], v98, v87
	v_cmp_lt_f32_e64 s[28:29], v5, v87
	;; [unrolled: 1-line block ×4, first 2 shown]
	v_div_fixup_f32 v0, v42, v0, 1.0
	v_div_fmas_f32 v42, v96, v103, v43
	v_cndmask_b32_e64 v104, 0, v80, s[18:19]
	v_cndmask_b32_e64 v105, 0, v80, s[16:17]
	;; [unrolled: 1-line block ×4, first 2 shown]
	s_and_b64 s[22:23], s[14:15], s[22:23]
	s_and_b64 s[28:29], s[14:15], s[28:29]
	;; [unrolled: 1-line block ×4, first 2 shown]
	v_div_fixup_f32 v42, v42, v87, 1.0
	v_fma_f32 v43, -v0, v89, 1.0
	v_fma_f32 v3, -v0, v3, 1.0
	v_pk_fma_f32 v[40:41], v[0:1], v[40:41], 1.0 op_sel_hi:[0,1,0] neg_lo:[1,0,0] neg_hi:[1,0,0]
	v_cndmask_b32_e64 v108, 0, 1.0, s[22:23]
	v_cndmask_b32_e64 v95, 0, 1.0, s[28:29]
	;; [unrolled: 1-line block ×4, first 2 shown]
	s_add_u32 s58, s58, 16
	v_cndmask_b32_e64 v7, v7, -|v7|, s[44:45]
	v_cndmask_b32_e64 v6, v6, -|v6|, s[44:45]
	v_fmac_f32_e32 v45, v43, v104
	v_fma_f32 v0, -v42, v98, 1.0
	v_fmac_f32_e32 v44, v3, v105
	v_pk_fma_f32 v[10:11], v[40:41], v[90:91], v[10:11]
	v_pk_fma_f32 v[4:5], v[42:43], v[4:5], 1.0 op_sel_hi:[0,1,0] neg_lo:[1,0,0] neg_hi:[1,0,0]
	v_fma_f32 v3, -v42, v99, 1.0
	v_mul_f32_e32 v106, v88, v108
	v_pk_mul_f32 v[94:95], v[88:89], v[94:95] op_sel_hi:[0,1]
	v_mul_f32_e32 v88, v88, v109
	s_addc_u32 s59, s59, 0
	s_add_i32 s64, s64, -1
	v_cndmask_b32_e64 v0, v0, 1.0, s[18:19]
	v_cndmask_b32_e64 v5, v5, 1.0, s[24:25]
	;; [unrolled: 1-line block ×3, first 2 shown]
	v_pk_fma_f32 v[6:7], v[6:7], s[56:57], v[10:11] op_sel_hi:[1,0,1]
	v_fmac_f32_e32 v45, 0x42340000, v39
	v_fmac_f32_e32 v44, 0x42340000, v92
	v_cndmask_b32_e64 v3, v3, 1.0, s[16:17]
	s_cmp_lg_u32 s64, 0
	v_pk_fma_f32 v[10:11], v[4:5], v[94:95], v[6:7]
	v_fmac_f32_e32 v45, v0, v106
	v_fmac_f32_e32 v44, v3, v88
	s_cbranch_scc1 .LBB2_28
; %bb.29:                               ;   in Loop: Header=BB2_27 Depth=1
	s_add_i32 s54, s54, 1
	s_cmp_lg_u32 s54, s60
	s_cbranch_scc1 .LBB2_27
; %bb.30:
	s_and_saveexec_b64 s[4:5], s[6:7]
	s_cbranch_execz .LBB2_32
; %bb.31:
	v_mov_b32_e32 v9, 0
	v_lshlrev_b64 v[0:1], 2, v[8:9]
	v_mov_b32_e32 v3, s49
	v_add_co_u32_e32 v0, vcc, s48, v0
	v_mul_f32_e32 v2, 0.5, v10
	v_addc_co_u32_e32 v1, vcc, v3, v1, vcc
	v_add_u32_e32 v8, s33, v8
	global_store_dword v[0:1], v2, off
	v_lshlrev_b64 v[0:1], 2, v[8:9]
	v_add_co_u32_e32 v0, vcc, s48, v0
	v_mul_f32_e32 v2, 0.5, v11
	v_addc_co_u32_e32 v1, vcc, v3, v1, vcc
	v_add_u32_e32 v8, s33, v8
	global_store_dword v[0:1], v2, off
	v_lshlrev_b64 v[0:1], 2, v[8:9]
	;; [unrolled: 6-line block ×3, first 2 shown]
	v_add_co_u32_e32 v0, vcc, s48, v0
	v_mul_f32_e32 v2, 0.5, v44
	v_addc_co_u32_e32 v1, vcc, v3, v1, vcc
	global_store_dword v[0:1], v2, off
.LBB2_32:
	s_endpgm
	.section	.rodata,"a",@progbits
	.p2align	6, 0x0
	.amdhsa_kernel _ZL11fasten_mainILm4EEviiPK4AtomS2_PKfS4_S4_S4_S4_S4_PfPK8FFParamsi
		.amdhsa_group_segment_fixed_size 0
		.amdhsa_private_segment_fixed_size 208
		.amdhsa_kernarg_size 352
		.amdhsa_user_sgpr_count 8
		.amdhsa_user_sgpr_private_segment_buffer 1
		.amdhsa_user_sgpr_dispatch_ptr 0
		.amdhsa_user_sgpr_queue_ptr 0
		.amdhsa_user_sgpr_kernarg_segment_ptr 1
		.amdhsa_user_sgpr_dispatch_id 0
		.amdhsa_user_sgpr_flat_scratch_init 1
		.amdhsa_user_sgpr_kernarg_preload_length 0
		.amdhsa_user_sgpr_kernarg_preload_offset 0
		.amdhsa_user_sgpr_private_segment_size 0
		.amdhsa_uses_dynamic_stack 0
		.amdhsa_system_sgpr_private_segment_wavefront_offset 1
		.amdhsa_system_sgpr_workgroup_id_x 1
		.amdhsa_system_sgpr_workgroup_id_y 0
		.amdhsa_system_sgpr_workgroup_id_z 0
		.amdhsa_system_sgpr_workgroup_info 0
		.amdhsa_system_vgpr_workitem_id 0
		.amdhsa_next_free_vgpr 111
		.amdhsa_next_free_sgpr 65
		.amdhsa_accum_offset 112
		.amdhsa_reserve_vcc 1
		.amdhsa_reserve_flat_scratch 0
		.amdhsa_float_round_mode_32 0
		.amdhsa_float_round_mode_16_64 0
		.amdhsa_float_denorm_mode_32 3
		.amdhsa_float_denorm_mode_16_64 3
		.amdhsa_dx10_clamp 1
		.amdhsa_ieee_mode 1
		.amdhsa_fp16_overflow 0
		.amdhsa_tg_split 0
		.amdhsa_exception_fp_ieee_invalid_op 0
		.amdhsa_exception_fp_denorm_src 0
		.amdhsa_exception_fp_ieee_div_zero 0
		.amdhsa_exception_fp_ieee_overflow 0
		.amdhsa_exception_fp_ieee_underflow 0
		.amdhsa_exception_fp_ieee_inexact 0
		.amdhsa_exception_int_div_zero 0
	.end_amdhsa_kernel
	.section	.text._ZL11fasten_mainILm4EEviiPK4AtomS2_PKfS4_S4_S4_S4_S4_PfPK8FFParamsi,"axG",@progbits,_ZL11fasten_mainILm4EEviiPK4AtomS2_PKfS4_S4_S4_S4_S4_PfPK8FFParamsi,comdat
.Lfunc_end2:
	.size	_ZL11fasten_mainILm4EEviiPK4AtomS2_PKfS4_S4_S4_S4_S4_PfPK8FFParamsi, .Lfunc_end2-_ZL11fasten_mainILm4EEviiPK4AtomS2_PKfS4_S4_S4_S4_S4_PfPK8FFParamsi
                                        ; -- End function
	.section	.AMDGPU.csdata,"",@progbits
; Kernel info:
; codeLenInByte = 7264
; NumSgprs: 69
; NumVgprs: 111
; NumAgprs: 0
; TotalNumVgprs: 111
; ScratchSize: 208
; MemoryBound: 0
; FloatMode: 240
; IeeeMode: 1
; LDSByteSize: 0 bytes/workgroup (compile time only)
; SGPRBlocks: 8
; VGPRBlocks: 13
; NumSGPRsForWavesPerEU: 69
; NumVGPRsForWavesPerEU: 111
; AccumOffset: 112
; Occupancy: 4
; WaveLimiterHint : 1
; COMPUTE_PGM_RSRC2:SCRATCH_EN: 1
; COMPUTE_PGM_RSRC2:USER_SGPR: 8
; COMPUTE_PGM_RSRC2:TRAP_HANDLER: 0
; COMPUTE_PGM_RSRC2:TGID_X_EN: 1
; COMPUTE_PGM_RSRC2:TGID_Y_EN: 0
; COMPUTE_PGM_RSRC2:TGID_Z_EN: 0
; COMPUTE_PGM_RSRC2:TIDIG_COMP_CNT: 0
; COMPUTE_PGM_RSRC3_GFX90A:ACCUM_OFFSET: 27
; COMPUTE_PGM_RSRC3_GFX90A:TG_SPLIT: 0
	.section	.text._ZL11fasten_mainILm8EEviiPK4AtomS2_PKfS4_S4_S4_S4_S4_PfPK8FFParamsi,"axG",@progbits,_ZL11fasten_mainILm8EEviiPK4AtomS2_PKfS4_S4_S4_S4_S4_PfPK8FFParamsi,comdat
	.globl	_ZL11fasten_mainILm8EEviiPK4AtomS2_PKfS4_S4_S4_S4_S4_PfPK8FFParamsi ; -- Begin function _ZL11fasten_mainILm8EEviiPK4AtomS2_PKfS4_S4_S4_S4_S4_PfPK8FFParamsi
	.p2align	8
	.type	_ZL11fasten_mainILm8EEviiPK4AtomS2_PKfS4_S4_S4_S4_S4_PfPK8FFParamsi,@function
_ZL11fasten_mainILm8EEviiPK4AtomS2_PKfS4_S4_S4_S4_S4_PfPK8FFParamsi: ; @_ZL11fasten_mainILm8EEviiPK4AtomS2_PKfS4_S4_S4_S4_S4_PfPK8FFParamsi
; %bb.0:
	s_load_dword s6, s[4:5], 0x6c
	s_load_dword s7, s[4:5], 0x58
	s_load_dwordx16 s[36:51], s[4:5], 0x8
	s_add_u32 s0, s0, s9
	s_addc_u32 s1, s1, 0
	s_waitcnt lgkmcnt(0)
	s_and_b32 s33, s6, 0xffff
	s_mul_i32 s8, s8, s33
	v_lshl_add_u32 v4, s8, 3, v0
	s_add_i32 s6, s7, -8
	v_mov_b32_e32 v0, s6
	v_cmp_gt_i32_e64 s[16:17], s7, v4
	v_mov_b32_e32 v2, v4
	v_cndmask_b32_e64 v0, v0, v4, s[16:17]
	buffer_store_dword v2, off, s[0:3], 0 offset:520 ; 4-byte Folded Spill
	s_nop 0
	buffer_store_dword v3, off, s[0:3], 0 offset:524 ; 4-byte Folded Spill
	v_ashrrev_i32_e32 v1, 31, v0
	v_lshlrev_b64 v[0:1], 2, v[0:1]
	s_lshl_b32 s20, s33, 2
	s_mov_b32 s21, 0
	v_mov_b32_e32 v8, 0
	s_mov_b64 s[12:13], 0
	v_mov_b32_e32 v9, s41
	s_brev_b32 s22, 18
	s_mov_b32 s23, 0xfe5163ab
	s_mov_b32 s24, 0x3c439041
	;; [unrolled: 1-line block ×10, first 2 shown]
	v_mov_b32_e32 v10, 0xbe2aaa9d
	v_mov_b32_e32 v11, 0x3d2aabf7
	;; [unrolled: 1-line block ×3, first 2 shown]
	s_movk_i32 s35, 0x1f8
	v_mov_b32_e32 v3, 0
	v_not_b32_e32 v13, 63
	v_not_b32_e32 v20, 31
	v_mov_b32_e32 v21, 0x7fc00000
                                        ; implicit-def: $vgpr18
                                        ; implicit-def: $vgpr14
                                        ; implicit-def: $vgpr16
                                        ; implicit-def: $vgpr79
                                        ; implicit-def: $vgpr77
	s_branch .LBB3_2
.LBB3_1:                                ;   in Loop: Header=BB3_2 Depth=1
	s_or_b64 exec, exec, s[6:7]
	v_mul_f32_e32 v35, v34, v34
	v_mov_b32_e32 v36, 0x3c0881c4
	v_fmac_f32_e32 v36, 0xb94c1982, v35
	v_fma_f32 v36, v35, v36, v10
	v_mul_f32_e32 v36, v35, v36
	v_fmac_f32_e32 v34, v34, v36
	v_mov_b32_e32 v36, 0xbab64f3b
	v_fmac_f32_e32 v36, 0x37d75334, v35
	v_fma_f32 v36, v35, v36, v11
	v_fma_f32 v36, v35, v36, v12
	v_fma_f32 v35, v35, v36, 1.0
	v_and_b32_e32 v36, 1, v33
	v_lshlrev_b32_e32 v33, 30, v33
	v_cmp_eq_u32_e32 vcc, 0, v36
	v_and_b32_e32 v33, 0x80000000, v33
	v_xor_b32_e32 v31, v31, v4
	v_cndmask_b32_e32 v34, v35, v34, vcc
	v_xor_b32_e32 v31, v31, v33
	v_xor_b32_e32 v31, v31, v34
	v_cmp_class_f32_e64 vcc, v4, s35
	v_cndmask_b32_e32 v4, v21, v31, vcc
	v_mul_f32_e32 v31, v30, v30
	v_mov_b32_e32 v33, 0x3c0881c4
	v_fmac_f32_e32 v33, 0xb94c1982, v31
	v_fma_f32 v33, v31, v33, v10
	v_mul_f32_e32 v33, v31, v33
	v_fmac_f32_e32 v30, v30, v33
	v_mov_b32_e32 v33, 0xbab64f3b
	v_fmac_f32_e32 v33, 0x37d75334, v31
	v_fma_f32 v33, v31, v33, v11
	v_fma_f32 v33, v31, v33, v12
	v_fma_f32 v31, v31, v33, 1.0
	v_and_b32_e32 v33, 1, v6
	v_cmp_eq_u32_e64 s[6:7], 0, v33
	v_lshlrev_b32_e32 v6, 30, v6
	v_cndmask_b32_e64 v30, -v30, v31, s[6:7]
	v_and_b32_e32 v6, 0x80000000, v6
	v_xor_b32_e32 v6, v6, v30
	v_mul_f32_e32 v30, v29, v29
	v_mov_b32_e32 v31, 0x3c0881c4
	v_fmac_f32_e32 v31, 0xb94c1982, v30
	v_fma_f32 v31, v30, v31, v10
	v_mul_f32_e32 v31, v30, v31
	v_fmac_f32_e32 v29, v29, v31
	v_mov_b32_e32 v31, 0xbab64f3b
	v_fmac_f32_e32 v31, 0x37d75334, v30
	v_fma_f32 v31, v30, v31, v11
	v_fma_f32 v31, v30, v31, v12
	v_fma_f32 v30, v30, v31, 1.0
	v_and_b32_e32 v31, 1, v28
	v_lshlrev_b32_e32 v28, 30, v28
	v_cmp_class_f32_e64 s[6:7], v26, s35
	v_cmp_eq_u32_e64 s[8:9], 0, v31
	v_and_b32_e32 v28, 0x80000000, v28
	v_xor_b32_e32 v26, v27, v26
	v_cndmask_b32_e64 v29, v30, v29, s[8:9]
	v_xor_b32_e32 v26, v26, v28
	v_xor_b32_e32 v26, v26, v29
	v_cndmask_b32_e64 v6, v21, v6, s[6:7]
	v_cndmask_b32_e64 v30, v21, v26, s[6:7]
	v_mov_b32_e32 v27, s47
	v_add_co_u32_e64 v26, s[6:7], s46, v0
	v_addc_co_u32_e64 v27, s[6:7], v27, v1, s[6:7]
	v_mul_f32_e32 v28, v25, v25
	global_load_dword v31, v[26:27], off
	v_mov_b32_e32 v26, 0x3c0881c4
	v_fmac_f32_e32 v26, 0xb94c1982, v28
	v_fma_f32 v26, v28, v26, v10
	v_mul_f32_e32 v29, v28, v26
	v_mov_b32_e32 v27, s49
	v_add_co_u32_e64 v26, s[6:7], s48, v0
	v_addc_co_u32_e64 v27, s[6:7], v27, v1, s[6:7]
	global_load_dword v33, v[26:27], off
	v_mov_b32_e32 v27, s51
	v_add_co_u32_e64 v26, s[6:7], s50, v0
	v_addc_co_u32_e64 v27, s[6:7], v27, v1, s[6:7]
	global_load_dword v34, v[26:27], off
	v_mov_b32_e32 v26, 0xbab64f3b
	v_fmac_f32_e32 v26, 0x37d75334, v28
	v_fma_f32 v26, v28, v26, v11
	v_fma_f32 v26, v28, v26, v12
	v_and_b32_e32 v27, 1, v24
	v_fmac_f32_e32 v25, v25, v29
	v_fma_f32 v26, v28, v26, 1.0
	v_cmp_eq_u32_e64 s[6:7], 0, v27
	v_lshlrev_b32_e32 v24, 30, v24
	v_cndmask_b32_e64 v25, -v25, v26, s[6:7]
	v_and_b32_e32 v24, 0x80000000, v24
	v_xor_b32_e32 v24, v24, v25
	v_cmp_class_f32_e64 s[6:7], v5, s35
	v_cndmask_b32_e64 v25, v21, v24, s[6:7]
	v_mul_f32_e32 v24, v23, v23
	v_mov_b32_e32 v26, 0x3c0881c4
	v_fmac_f32_e32 v26, 0xb94c1982, v24
	v_fma_f32 v26, v24, v26, v10
	v_mul_f32_e32 v26, v24, v26
	v_fmac_f32_e32 v23, v23, v26
	v_mov_b32_e32 v26, 0xbab64f3b
	v_fmac_f32_e32 v26, 0x37d75334, v24
	v_fma_f32 v26, v24, v26, v11
	v_fma_f32 v26, v24, v26, v12
	v_fma_f32 v24, v24, v26, 1.0
	v_and_b32_e32 v26, 1, v22
	v_lshlrev_b32_e32 v22, 30, v22
	v_cmp_eq_u32_e64 s[8:9], 0, v26
	v_and_b32_e32 v22, 0x80000000, v22
	v_xor_b32_e32 v5, v7, v5
	v_cndmask_b32_e64 v23, v24, v23, s[8:9]
	v_xor_b32_e32 v5, v5, v22
	v_xor_b32_e32 v5, v5, v23
	v_cndmask_b32_e64 v24, v21, v5, s[6:7]
	v_mul_f32_e32 v5, v32, v32
	v_mov_b32_e32 v7, 0x3c0881c4
	v_fmac_f32_e32 v7, 0xb94c1982, v5
	v_fma_f32 v7, v5, v7, v10
	v_mul_f32_e32 v7, v5, v7
	v_fmac_f32_e32 v32, v32, v7
	v_mov_b32_e32 v7, 0xbab64f3b
	v_fmac_f32_e32 v7, 0x37d75334, v5
	v_fma_f32 v7, v5, v7, v11
	v_fma_f32 v7, v5, v7, v12
	v_fma_f32 v5, v5, v7, 1.0
	v_and_b32_e32 v7, 1, v2
	v_cmp_eq_u32_e64 s[6:7], 0, v7
	v_lshlrev_b32_e32 v2, 30, v2
	v_cndmask_b32_e64 v5, -v32, v5, s[6:7]
	v_and_b32_e32 v2, 0x80000000, v2
	v_xor_b32_e32 v2, v2, v5
	s_cmp_lg_u32 s12, 0
	v_cndmask_b32_e32 v22, v21, v2, vcc
	v_mul_f32_e32 v2, v24, v30
	s_cselect_b64 vcc, -1, 0
	s_cmp_lg_u32 s12, 1
	v_mul_f32_e32 v7, v2, v22
	v_mul_f32_e32 v23, v25, v4
	v_cndmask_b32_e32 v18, 0, v18, vcc
	s_cselect_b64 vcc, -1, 0
	s_cmp_lg_u32 s12, 2
	v_pk_mul_f32 v[26:27], v[6:7], v[22:23]
	v_pk_add_f32 v[28:29], v[6:7], v[22:23] neg_lo:[0,1] neg_hi:[0,1]
	v_mul_f32_e32 v23, v25, v30
	v_cndmask_b32_e32 v19, 0, v19, vcc
	s_cselect_b64 vcc, -1, 0
	s_cmp_lg_u32 s12, 3
	v_mul_f32_e32 v5, v23, v22
	v_cndmask_b32_e32 v14, 0, v14, vcc
	s_cselect_b64 vcc, -1, 0
	s_cmp_lg_u32 s12, 4
	v_fmac_f32_e32 v5, v24, v4
	v_cndmask_b32_e32 v15, 0, v15, vcc
	s_cselect_b64 vcc, -1, 0
	s_cmp_lg_u32 s12, 5
	buffer_store_dword v26, v8, s[0:3], 0 offen
	buffer_store_dword v29, v8, s[0:3], 0 offen offset:4
	buffer_store_dword v5, v8, s[0:3], 0 offen offset:8
	s_waitcnt vmcnt(5)
	buffer_store_dword v31, v8, s[0:3], 0 offen offset:12
	v_mul_f32_e32 v7, v2, v4
	v_mul_f32_e32 v5, v25, v22
	;; [unrolled: 1-line block ×3, first 2 shown]
	v_cndmask_b32_e32 v16, 0, v16, vcc
	s_cselect_b64 vcc, -1, 0
	s_cmp_lg_u32 s12, 6
	v_pk_mul_f32 v[26:27], v[6:7], v[4:5]
	v_fma_f32 v2, v23, v4, -v2
	v_cndmask_b32_e32 v17, 0, v17, vcc
	s_cselect_b64 vcc, -1, 0
	s_cmp_lg_u32 s12, 7
	v_pk_add_f32 v[28:29], v[6:7], v[4:5]
	buffer_store_dword v26, v8, s[0:3], 0 offen offset:16
	buffer_store_dword v29, v8, s[0:3], 0 offen offset:20
	;; [unrolled: 1-line block ×3, first 2 shown]
	s_waitcnt vmcnt(8)
	buffer_store_dword v33, v8, s[0:3], 0 offen offset:28
	v_xor_b32_e32 v2, 0x80000000, v30
	v_cndmask_b32_e32 v79, 0, v79, vcc
	s_cselect_b64 vcc, -1, 0
	s_add_u32 s12, s12, 1
	buffer_store_dword v2, v8, s[0:3], 0 offen offset:32
	v_pk_mul_f32 v[4:5], v[24:25], v[6:7] op_sel_hi:[1,0]
	v_cndmask_b32_e32 v77, 0, v77, vcc
	s_addc_u32 s13, s13, 0
	v_mov_b32_e32 v2, s21
	v_add_co_u32_e32 v0, vcc, s20, v0
	buffer_store_dword v5, v8, s[0:3], 0 offen offset:40
	buffer_store_dword v4, v8, s[0:3], 0 offen offset:36
	s_waitcnt vmcnt(11)
	buffer_store_dword v34, v8, s[0:3], 0 offen offset:44
	v_addc_co_u32_e32 v1, vcc, v1, v2, vcc
	s_cmp_lg_u32 s12, 8
	v_add_u32_e32 v8, 48, v8
	s_cbranch_scc0 .LBB3_26
.LBB3_2:                                ; =>This Inner Loop Header: Depth=1
	v_add_co_u32_e32 v4, vcc, s40, v0
	v_addc_co_u32_e32 v5, vcc, v9, v1, vcc
	global_load_dword v5, v[4:5], off
                                        ; implicit-def: $vgpr22
                                        ; implicit-def: $vgpr23
	s_waitcnt vmcnt(0)
	v_and_b32_e32 v7, 0x7fffffff, v5
	v_lshrrev_b32_e32 v2, 23, v7
	v_and_b32_e32 v4, 0x7fffff, v7
	v_cmp_nlt_f32_e64 s[14:15], |v5|, s22
	v_add_u32_e32 v6, 0xffffff88, v2
	v_or_b32_e32 v4, 0x800000, v4
	s_and_saveexec_b64 s[6:7], s[14:15]
	s_xor_b64 s[18:19], exec, s[6:7]
	s_cbranch_execz .LBB3_4
; %bb.3:                                ;   in Loop: Header=BB3_2 Depth=1
	v_cmp_lt_u32_e32 vcc, 63, v6
	v_cndmask_b32_e32 v2, 0, v13, vcc
	v_add_u32_e32 v2, v2, v6
	v_cmp_lt_u32_e64 s[6:7], 31, v2
	v_cndmask_b32_e64 v22, 0, v20, s[6:7]
	v_add_u32_e32 v2, v22, v2
	v_cmp_lt_u32_e64 s[8:9], 31, v2
	v_cndmask_b32_e64 v22, 0, v20, s[8:9]
	v_add_u32_e32 v36, v22, v2
	v_mad_u64_u32 v[22:23], s[10:11], v4, s23, 0
	v_mov_b32_e32 v2, v23
	v_mad_u64_u32 v[24:25], s[10:11], v4, s24, v[2:3]
	v_mov_b32_e32 v2, v25
	;; [unrolled: 2-line block ×6, first 2 shown]
	v_mad_u64_u32 v[34:35], s[10:11], v4, s29, v[2:3]
	v_cndmask_b32_e32 v23, v32, v28, vcc
	v_cndmask_b32_e32 v2, v34, v30, vcc
	;; [unrolled: 1-line block ×3, first 2 shown]
	v_cndmask_b32_e64 v25, v2, v23, s[6:7]
	v_cndmask_b32_e64 v2, v27, v2, s[6:7]
	v_cndmask_b32_e32 v27, v30, v26, vcc
	v_cndmask_b32_e64 v23, v23, v27, s[6:7]
	v_cndmask_b32_e32 v24, v28, v24, vcc
	v_cndmask_b32_e64 v2, v2, v25, s[8:9]
	v_cndmask_b32_e64 v25, v25, v23, s[8:9]
	v_sub_u32_e32 v29, 32, v36
	v_cndmask_b32_e64 v27, v27, v24, s[6:7]
	v_alignbit_b32 v30, v2, v25, v29
	v_cmp_eq_u32_e64 s[10:11], 0, v36
	v_cndmask_b32_e64 v23, v23, v27, s[8:9]
	v_cndmask_b32_e32 v22, v26, v22, vcc
	v_cndmask_b32_e64 v2, v30, v2, s[10:11]
	v_alignbit_b32 v28, v25, v23, v29
	v_cndmask_b32_e64 v22, v24, v22, s[6:7]
	v_cndmask_b32_e64 v25, v28, v25, s[10:11]
	v_bfe_u32 v31, v2, 29, 1
	v_cndmask_b32_e64 v22, v27, v22, s[8:9]
	v_alignbit_b32 v28, v2, v25, 30
	v_sub_u32_e32 v32, 0, v31
	v_alignbit_b32 v24, v23, v22, v29
	v_xor_b32_e32 v33, v28, v32
	v_cndmask_b32_e64 v23, v24, v23, s[10:11]
	v_alignbit_b32 v24, v25, v23, 30
	v_ffbh_u32_e32 v25, v33
	v_add_u32_e32 v25, 1, v25
	v_cmp_ne_u32_e32 vcc, v28, v32
	v_cndmask_b32_e32 v25, 33, v25, vcc
	v_alignbit_b32 v22, v23, v22, 30
	v_xor_b32_e32 v24, v24, v32
	v_sub_u32_e32 v26, 32, v25
	v_xor_b32_e32 v22, v22, v32
	v_alignbit_b32 v27, v33, v24, v26
	v_alignbit_b32 v22, v24, v22, v26
	;; [unrolled: 1-line block ×3, first 2 shown]
	v_ffbh_u32_e32 v24, v23
	v_min_u32_e32 v24, 32, v24
	v_lshrrev_b32_e32 v30, 29, v2
	v_sub_u32_e32 v26, 31, v24
	v_alignbit_b32 v22, v23, v22, v26
	v_lshlrev_b32_e32 v23, 31, v30
	v_or_b32_e32 v26, 0x33800000, v23
	v_add_lshl_u32 v24, v24, v25, 23
	v_lshrrev_b32_e32 v22, 9, v22
	v_sub_u32_e32 v24, v26, v24
	v_or_b32_e32 v22, v24, v22
	v_alignbit_b32 v24, v25, v27, 9
	v_or_b32_e32 v23, v24, v23
	v_xor_b32_e32 v23, 1.0, v23
	v_mul_f32_e32 v24, 0x3fc90fda, v23
	v_fma_f32 v25, v23, s30, -v24
	v_fmac_f32_e32 v25, 0x33a22168, v23
	v_fmac_f32_e32 v25, 0x3fc90fda, v22
	v_lshrrev_b32_e32 v2, 30, v2
	v_add_f32_e32 v23, v24, v25
	v_add_u32_e32 v22, v31, v2
.LBB3_4:                                ;   in Loop: Header=BB3_2 Depth=1
	s_or_saveexec_b64 s[6:7], s[18:19]
	v_mul_f32_e64 v2, |v5|, s31
	v_rndne_f32_e32 v2, v2
	s_xor_b64 exec, exec, s[6:7]
; %bb.5:                                ;   in Loop: Header=BB3_2 Depth=1
	v_cvt_i32_f32_e32 v22, v2
	v_fma_f32 v23, v2, s34, |v5|
	v_fmac_f32_e32 v23, 0xb3a22168, v2
	v_fmac_f32_e32 v23, 0xa7c234c4, v2
; %bb.6:                                ;   in Loop: Header=BB3_2 Depth=1
	s_or_b64 exec, exec, s[6:7]
                                        ; implicit-def: $vgpr24
                                        ; implicit-def: $vgpr25
	s_and_saveexec_b64 s[6:7], s[14:15]
	s_xor_b64 s[14:15], exec, s[6:7]
	s_cbranch_execz .LBB3_8
; %bb.7:                                ;   in Loop: Header=BB3_2 Depth=1
	v_cmp_lt_u32_e32 vcc, 63, v6
	v_cndmask_b32_e32 v2, 0, v13, vcc
	v_add_u32_e32 v2, v2, v6
	v_cmp_lt_u32_e64 s[6:7], 31, v2
	v_cndmask_b32_e64 v6, 0, v20, s[6:7]
	v_add_u32_e32 v2, v6, v2
	v_cmp_lt_u32_e64 s[8:9], 31, v2
	v_cndmask_b32_e64 v6, 0, v20, s[8:9]
	v_mad_u64_u32 v[24:25], s[10:11], v4, s23, 0
	v_add_u32_e32 v6, v6, v2
	v_mov_b32_e32 v2, v25
	v_mad_u64_u32 v[26:27], s[10:11], v4, s24, v[2:3]
	v_mov_b32_e32 v2, v27
	v_mad_u64_u32 v[28:29], s[10:11], v4, s25, v[2:3]
	;; [unrolled: 2-line block ×6, first 2 shown]
	v_cndmask_b32_e32 v25, v34, v30, vcc
	v_cndmask_b32_e32 v2, v36, v32, vcc
	;; [unrolled: 1-line block ×3, first 2 shown]
	v_cndmask_b32_e64 v4, v2, v25, s[6:7]
	v_cndmask_b32_e64 v2, v27, v2, s[6:7]
	v_cndmask_b32_e32 v27, v32, v28, vcc
	v_cndmask_b32_e64 v25, v25, v27, s[6:7]
	v_sub_u32_e32 v29, 32, v6
	v_cmp_eq_u32_e64 s[10:11], 0, v6
	v_cndmask_b32_e32 v6, v30, v26, vcc
	v_cndmask_b32_e64 v2, v2, v4, s[8:9]
	v_cndmask_b32_e64 v4, v4, v25, s[8:9]
	;; [unrolled: 1-line block ×3, first 2 shown]
	v_alignbit_b32 v31, v2, v4, v29
	v_cndmask_b32_e64 v25, v25, v26, s[8:9]
	v_cndmask_b32_e64 v2, v31, v2, s[10:11]
	v_alignbit_b32 v27, v4, v25, v29
	v_cndmask_b32_e32 v24, v28, v24, vcc
	v_cndmask_b32_e64 v4, v27, v4, s[10:11]
	v_bfe_u32 v31, v2, 29, 1
	v_cndmask_b32_e64 v6, v6, v24, s[6:7]
	v_alignbit_b32 v27, v2, v4, 30
	v_sub_u32_e32 v32, 0, v31
	v_cndmask_b32_e64 v6, v26, v6, s[8:9]
	v_xor_b32_e32 v33, v27, v32
	v_alignbit_b32 v24, v25, v6, v29
	v_cndmask_b32_e64 v24, v24, v25, s[10:11]
	v_ffbh_u32_e32 v25, v33
	v_add_u32_e32 v25, 1, v25
	v_cmp_ne_u32_e32 vcc, v27, v32
	v_alignbit_b32 v4, v4, v24, 30
	v_cndmask_b32_e32 v25, 33, v25, vcc
	v_alignbit_b32 v6, v24, v6, 30
	v_xor_b32_e32 v4, v4, v32
	v_sub_u32_e32 v26, 32, v25
	v_xor_b32_e32 v6, v6, v32
	v_alignbit_b32 v27, v33, v4, v26
	v_alignbit_b32 v4, v4, v6, v26
	;; [unrolled: 1-line block ×3, first 2 shown]
	v_ffbh_u32_e32 v24, v6
	v_min_u32_e32 v24, 32, v24
	v_lshrrev_b32_e32 v30, 29, v2
	v_sub_u32_e32 v26, 31, v24
	v_alignbit_b32 v4, v6, v4, v26
	v_lshlrev_b32_e32 v6, 31, v30
	v_or_b32_e32 v26, 0x33800000, v6
	v_add_lshl_u32 v24, v24, v25, 23
	v_lshrrev_b32_e32 v4, 9, v4
	v_sub_u32_e32 v24, v26, v24
	v_or_b32_e32 v4, v24, v4
	v_alignbit_b32 v24, v25, v27, 9
	v_or_b32_e32 v6, v24, v6
	v_xor_b32_e32 v6, 1.0, v6
	v_mul_f32_e32 v24, 0x3fc90fda, v6
	v_fma_f32 v25, v6, s30, -v24
	v_fmac_f32_e32 v25, 0x33a22168, v6
	v_fmac_f32_e32 v25, 0x3fc90fda, v4
	v_lshrrev_b32_e32 v2, 30, v2
	v_add_f32_e32 v25, v24, v25
	v_add_u32_e32 v24, v31, v2
                                        ; implicit-def: $vgpr2
	s_andn2_saveexec_b64 s[6:7], s[14:15]
	s_cbranch_execnz .LBB3_9
	s_branch .LBB3_10
.LBB3_8:                                ;   in Loop: Header=BB3_2 Depth=1
	s_andn2_saveexec_b64 s[6:7], s[14:15]
.LBB3_9:                                ;   in Loop: Header=BB3_2 Depth=1
	v_cvt_i32_f32_e32 v24, v2
	v_fma_f32 v25, v2, s34, |v5|
	v_fmac_f32_e32 v25, 0xb3a22168, v2
	v_fmac_f32_e32 v25, 0xa7c234c4, v2
.LBB3_10:                               ;   in Loop: Header=BB3_2 Depth=1
	s_or_b64 exec, exec, s[6:7]
	v_mov_b32_e32 v2, s43
	v_add_co_u32_e32 v26, vcc, s42, v0
	v_addc_co_u32_e32 v27, vcc, v2, v1, vcc
	global_load_dword v26, v[26:27], off
                                        ; implicit-def: $vgpr28
                                        ; implicit-def: $vgpr29
	s_waitcnt vmcnt(0)
	v_and_b32_e32 v27, 0x7fffffff, v26
	v_lshrrev_b32_e32 v2, 23, v27
	v_and_b32_e32 v4, 0x7fffff, v27
	v_cmp_nlt_f32_e64 s[14:15], |v26|, s22
	v_add_u32_e32 v31, 0xffffff88, v2
	v_or_b32_e32 v4, 0x800000, v4
	s_and_saveexec_b64 s[6:7], s[14:15]
	s_xor_b64 s[18:19], exec, s[6:7]
	s_cbranch_execz .LBB3_12
; %bb.11:                               ;   in Loop: Header=BB3_2 Depth=1
	v_cmp_lt_u32_e32 vcc, 63, v31
	v_cndmask_b32_e32 v2, 0, v13, vcc
	v_add_u32_e32 v2, v2, v31
	v_cmp_lt_u32_e64 s[6:7], 31, v2
	v_cndmask_b32_e64 v6, 0, v20, s[6:7]
	v_add_u32_e32 v2, v6, v2
	v_cmp_lt_u32_e64 s[8:9], 31, v2
	v_cndmask_b32_e64 v6, 0, v20, s[8:9]
	v_mad_u64_u32 v[28:29], s[10:11], v4, s23, 0
	v_add_u32_e32 v6, v6, v2
	v_mov_b32_e32 v2, v29
	v_mad_u64_u32 v[32:33], s[10:11], v4, s24, v[2:3]
	v_mov_b32_e32 v2, v33
	v_mad_u64_u32 v[34:35], s[10:11], v4, s25, v[2:3]
	;; [unrolled: 2-line block ×6, first 2 shown]
	v_cndmask_b32_e32 v29, v40, v36, vcc
	v_cndmask_b32_e32 v2, v42, v38, vcc
	;; [unrolled: 1-line block ×3, first 2 shown]
	v_cndmask_b32_e64 v30, v2, v29, s[6:7]
	v_cndmask_b32_e64 v2, v33, v2, s[6:7]
	v_cndmask_b32_e32 v33, v38, v34, vcc
	v_cndmask_b32_e64 v29, v29, v33, s[6:7]
	v_sub_u32_e32 v35, 32, v6
	v_cmp_eq_u32_e64 s[10:11], 0, v6
	v_cndmask_b32_e32 v6, v36, v32, vcc
	v_cndmask_b32_e64 v2, v2, v30, s[8:9]
	v_cndmask_b32_e64 v30, v30, v29, s[8:9]
	;; [unrolled: 1-line block ×3, first 2 shown]
	v_alignbit_b32 v37, v2, v30, v35
	v_cndmask_b32_e64 v29, v29, v32, s[8:9]
	v_cndmask_b32_e32 v28, v34, v28, vcc
	v_cndmask_b32_e64 v2, v37, v2, s[10:11]
	v_alignbit_b32 v33, v30, v29, v35
	v_cndmask_b32_e64 v6, v6, v28, s[6:7]
	v_cndmask_b32_e64 v30, v33, v30, s[10:11]
	v_bfe_u32 v37, v2, 29, 1
	v_cndmask_b32_e64 v6, v32, v6, s[8:9]
	v_alignbit_b32 v33, v2, v30, 30
	v_sub_u32_e32 v38, 0, v37
	v_alignbit_b32 v28, v29, v6, v35
	v_xor_b32_e32 v39, v33, v38
	v_cndmask_b32_e64 v28, v28, v29, s[10:11]
	v_alignbit_b32 v29, v30, v28, 30
	v_ffbh_u32_e32 v30, v39
	v_add_u32_e32 v30, 1, v30
	v_cmp_ne_u32_e32 vcc, v33, v38
	v_cndmask_b32_e32 v30, 33, v30, vcc
	v_alignbit_b32 v6, v28, v6, 30
	v_xor_b32_e32 v29, v29, v38
	v_sub_u32_e32 v32, 32, v30
	v_xor_b32_e32 v6, v6, v38
	v_alignbit_b32 v33, v39, v29, v32
	v_alignbit_b32 v6, v29, v6, v32
	;; [unrolled: 1-line block ×3, first 2 shown]
	v_ffbh_u32_e32 v29, v28
	v_min_u32_e32 v29, 32, v29
	v_lshrrev_b32_e32 v36, 29, v2
	v_sub_u32_e32 v32, 31, v29
	v_alignbit_b32 v6, v28, v6, v32
	v_lshlrev_b32_e32 v28, 31, v36
	v_or_b32_e32 v32, 0x33800000, v28
	v_add_lshl_u32 v29, v29, v30, 23
	v_lshrrev_b32_e32 v6, 9, v6
	v_sub_u32_e32 v29, v32, v29
	v_or_b32_e32 v6, v29, v6
	v_alignbit_b32 v29, v30, v33, 9
	v_or_b32_e32 v28, v29, v28
	v_xor_b32_e32 v28, 1.0, v28
	v_mul_f32_e32 v29, 0x3fc90fda, v28
	v_fma_f32 v30, v28, s30, -v29
	v_fmac_f32_e32 v30, 0x33a22168, v28
	v_fmac_f32_e32 v30, 0x3fc90fda, v6
	v_lshrrev_b32_e32 v2, 30, v2
	v_add_f32_e32 v29, v29, v30
	v_add_u32_e32 v28, v37, v2
.LBB3_12:                               ;   in Loop: Header=BB3_2 Depth=1
	s_or_saveexec_b64 s[6:7], s[18:19]
	v_mul_f32_e64 v2, |v26|, s31
	v_rndne_f32_e32 v2, v2
	s_xor_b64 exec, exec, s[6:7]
; %bb.13:                               ;   in Loop: Header=BB3_2 Depth=1
	v_cvt_i32_f32_e32 v28, v2
	v_fma_f32 v29, v2, s34, |v26|
	v_fmac_f32_e32 v29, 0xb3a22168, v2
	v_fmac_f32_e32 v29, 0xa7c234c4, v2
; %bb.14:                               ;   in Loop: Header=BB3_2 Depth=1
	s_or_b64 exec, exec, s[6:7]
                                        ; implicit-def: $vgpr6
                                        ; implicit-def: $vgpr30
	s_and_saveexec_b64 s[6:7], s[14:15]
	s_xor_b64 s[14:15], exec, s[6:7]
	s_cbranch_execz .LBB3_16
; %bb.15:                               ;   in Loop: Header=BB3_2 Depth=1
	v_cmp_lt_u32_e32 vcc, 63, v31
	v_cndmask_b32_e32 v2, 0, v13, vcc
	v_add_u32_e32 v2, v2, v31
	v_cmp_lt_u32_e64 s[6:7], 31, v2
	v_cndmask_b32_e64 v6, 0, v20, s[6:7]
	v_add_u32_e32 v2, v6, v2
	v_cmp_lt_u32_e64 s[8:9], 31, v2
	v_cndmask_b32_e64 v6, 0, v20, s[8:9]
	v_mad_u64_u32 v[30:31], s[10:11], v4, s23, 0
	v_add_u32_e32 v6, v6, v2
	v_mov_b32_e32 v2, v31
	v_mad_u64_u32 v[32:33], s[10:11], v4, s24, v[2:3]
	v_mov_b32_e32 v2, v33
	v_mad_u64_u32 v[34:35], s[10:11], v4, s25, v[2:3]
	;; [unrolled: 2-line block ×6, first 2 shown]
	v_cndmask_b32_e32 v31, v40, v36, vcc
	v_cndmask_b32_e32 v2, v42, v38, vcc
	;; [unrolled: 1-line block ×3, first 2 shown]
	v_cndmask_b32_e64 v4, v2, v31, s[6:7]
	v_cndmask_b32_e64 v2, v33, v2, s[6:7]
	v_cndmask_b32_e32 v33, v38, v34, vcc
	v_cndmask_b32_e64 v31, v31, v33, s[6:7]
	v_sub_u32_e32 v35, 32, v6
	v_cmp_eq_u32_e64 s[10:11], 0, v6
	v_cndmask_b32_e32 v6, v36, v32, vcc
	v_cndmask_b32_e64 v2, v2, v4, s[8:9]
	v_cndmask_b32_e64 v4, v4, v31, s[8:9]
	;; [unrolled: 1-line block ×3, first 2 shown]
	v_alignbit_b32 v37, v2, v4, v35
	v_cndmask_b32_e64 v31, v31, v32, s[8:9]
	v_cndmask_b32_e64 v2, v37, v2, s[10:11]
	v_alignbit_b32 v33, v4, v31, v35
	v_cndmask_b32_e32 v30, v34, v30, vcc
	v_cndmask_b32_e64 v4, v33, v4, s[10:11]
	v_bfe_u32 v37, v2, 29, 1
	v_cndmask_b32_e64 v6, v6, v30, s[6:7]
	v_alignbit_b32 v33, v2, v4, 30
	v_sub_u32_e32 v38, 0, v37
	v_cndmask_b32_e64 v6, v32, v6, s[8:9]
	v_xor_b32_e32 v39, v33, v38
	v_alignbit_b32 v30, v31, v6, v35
	v_cndmask_b32_e64 v30, v30, v31, s[10:11]
	v_ffbh_u32_e32 v31, v39
	v_add_u32_e32 v31, 1, v31
	v_cmp_ne_u32_e32 vcc, v33, v38
	v_alignbit_b32 v4, v4, v30, 30
	v_cndmask_b32_e32 v31, 33, v31, vcc
	v_alignbit_b32 v6, v30, v6, 30
	v_xor_b32_e32 v4, v4, v38
	v_sub_u32_e32 v32, 32, v31
	v_xor_b32_e32 v6, v6, v38
	v_alignbit_b32 v33, v39, v4, v32
	v_alignbit_b32 v4, v4, v6, v32
	v_alignbit_b32 v6, v33, v4, 9
	v_ffbh_u32_e32 v30, v6
	v_min_u32_e32 v30, 32, v30
	v_lshrrev_b32_e32 v36, 29, v2
	v_sub_u32_e32 v32, 31, v30
	v_alignbit_b32 v4, v6, v4, v32
	v_lshlrev_b32_e32 v6, 31, v36
	v_or_b32_e32 v32, 0x33800000, v6
	v_add_lshl_u32 v30, v30, v31, 23
	v_lshrrev_b32_e32 v4, 9, v4
	v_sub_u32_e32 v30, v32, v30
	v_or_b32_e32 v4, v30, v4
	v_alignbit_b32 v30, v31, v33, 9
	v_or_b32_e32 v6, v30, v6
	v_xor_b32_e32 v6, 1.0, v6
	v_mul_f32_e32 v30, 0x3fc90fda, v6
	v_fma_f32 v31, v6, s30, -v30
	v_fmac_f32_e32 v31, 0x33a22168, v6
	v_fmac_f32_e32 v31, 0x3fc90fda, v4
	v_lshrrev_b32_e32 v2, 30, v2
	v_add_f32_e32 v30, v30, v31
	v_add_u32_e32 v6, v37, v2
                                        ; implicit-def: $vgpr2
	s_andn2_saveexec_b64 s[6:7], s[14:15]
	s_cbranch_execnz .LBB3_17
	s_branch .LBB3_18
.LBB3_16:                               ;   in Loop: Header=BB3_2 Depth=1
	s_andn2_saveexec_b64 s[6:7], s[14:15]
.LBB3_17:                               ;   in Loop: Header=BB3_2 Depth=1
	v_cvt_i32_f32_e32 v6, v2
	v_fma_f32 v30, v2, s34, |v26|
	v_fmac_f32_e32 v30, 0xb3a22168, v2
	v_fmac_f32_e32 v30, 0xa7c234c4, v2
.LBB3_18:                               ;   in Loop: Header=BB3_2 Depth=1
	s_or_b64 exec, exec, s[6:7]
	v_mov_b32_e32 v2, s45
	v_add_co_u32_e32 v32, vcc, s44, v0
	v_addc_co_u32_e32 v33, vcc, v2, v1, vcc
	global_load_dword v4, v[32:33], off
                                        ; implicit-def: $vgpr33
                                        ; implicit-def: $vgpr34
	s_waitcnt vmcnt(0)
	v_and_b32_e32 v31, 0x7fffffff, v4
	v_lshrrev_b32_e32 v2, 23, v31
	v_and_b32_e32 v32, 0x7fffff, v31
	v_cmp_nlt_f32_e64 s[14:15], |v4|, s22
	v_add_u32_e32 v36, 0xffffff88, v2
	v_or_b32_e32 v35, 0x800000, v32
	s_and_saveexec_b64 s[6:7], s[14:15]
	s_xor_b64 s[18:19], exec, s[6:7]
	s_cbranch_execz .LBB3_20
; %bb.19:                               ;   in Loop: Header=BB3_2 Depth=1
	v_cmp_lt_u32_e32 vcc, 63, v36
	v_cndmask_b32_e32 v2, 0, v13, vcc
	v_add_u32_e32 v2, v2, v36
	v_cmp_lt_u32_e64 s[6:7], 31, v2
	v_cndmask_b32_e64 v32, 0, v20, s[6:7]
	v_add_u32_e32 v2, v32, v2
	v_cmp_lt_u32_e64 s[8:9], 31, v2
	v_cndmask_b32_e64 v32, 0, v20, s[8:9]
	v_add_u32_e32 v34, v32, v2
	v_mad_u64_u32 v[32:33], s[10:11], v35, s23, 0
	v_mov_b32_e32 v2, v33
	v_mad_u64_u32 v[38:39], s[10:11], v35, s24, v[2:3]
	v_mov_b32_e32 v2, v39
	;; [unrolled: 2-line block ×6, first 2 shown]
	v_mad_u64_u32 v[48:49], s[10:11], v35, s29, v[2:3]
	v_cndmask_b32_e32 v33, v46, v42, vcc
	v_cndmask_b32_e32 v2, v48, v44, vcc
	;; [unrolled: 1-line block ×3, first 2 shown]
	v_cndmask_b32_e64 v37, v2, v33, s[6:7]
	v_cndmask_b32_e64 v2, v39, v2, s[6:7]
	v_cndmask_b32_e32 v39, v44, v40, vcc
	v_cndmask_b32_e64 v33, v33, v39, s[6:7]
	v_sub_u32_e32 v41, 32, v34
	v_cmp_eq_u32_e64 s[10:11], 0, v34
	v_cndmask_b32_e32 v34, v42, v38, vcc
	v_cndmask_b32_e64 v2, v2, v37, s[8:9]
	v_cndmask_b32_e64 v37, v37, v33, s[8:9]
	;; [unrolled: 1-line block ×3, first 2 shown]
	v_alignbit_b32 v43, v2, v37, v41
	v_cndmask_b32_e64 v33, v33, v38, s[8:9]
	v_cndmask_b32_e32 v32, v40, v32, vcc
	v_cndmask_b32_e64 v2, v43, v2, s[10:11]
	v_alignbit_b32 v39, v37, v33, v41
	v_cndmask_b32_e64 v32, v34, v32, s[6:7]
	v_cndmask_b32_e64 v37, v39, v37, s[10:11]
	v_bfe_u32 v43, v2, 29, 1
	v_cndmask_b32_e64 v32, v38, v32, s[8:9]
	v_alignbit_b32 v39, v2, v37, 30
	v_sub_u32_e32 v44, 0, v43
	v_alignbit_b32 v34, v33, v32, v41
	v_xor_b32_e32 v45, v39, v44
	v_cndmask_b32_e64 v33, v34, v33, s[10:11]
	v_alignbit_b32 v34, v37, v33, 30
	v_ffbh_u32_e32 v37, v45
	v_add_u32_e32 v37, 1, v37
	v_cmp_ne_u32_e32 vcc, v39, v44
	v_cndmask_b32_e32 v37, 33, v37, vcc
	v_alignbit_b32 v32, v33, v32, 30
	v_xor_b32_e32 v34, v34, v44
	v_sub_u32_e32 v38, 32, v37
	v_xor_b32_e32 v32, v32, v44
	v_alignbit_b32 v39, v45, v34, v38
	v_alignbit_b32 v32, v34, v32, v38
	;; [unrolled: 1-line block ×3, first 2 shown]
	v_ffbh_u32_e32 v34, v33
	v_min_u32_e32 v34, 32, v34
	v_lshrrev_b32_e32 v42, 29, v2
	v_sub_u32_e32 v38, 31, v34
	v_alignbit_b32 v32, v33, v32, v38
	v_lshlrev_b32_e32 v33, 31, v42
	v_or_b32_e32 v38, 0x33800000, v33
	v_add_lshl_u32 v34, v34, v37, 23
	v_lshrrev_b32_e32 v32, 9, v32
	v_sub_u32_e32 v34, v38, v34
	v_or_b32_e32 v32, v34, v32
	v_alignbit_b32 v34, v37, v39, 9
	v_or_b32_e32 v33, v34, v33
	v_xor_b32_e32 v33, 1.0, v33
	v_mul_f32_e32 v34, 0x3fc90fda, v33
	v_fma_f32 v37, v33, s30, -v34
	v_fmac_f32_e32 v37, 0x33a22168, v33
	v_fmac_f32_e32 v37, 0x3fc90fda, v32
	v_lshrrev_b32_e32 v2, 30, v2
	v_add_f32_e32 v34, v34, v37
	v_add_u32_e32 v33, v43, v2
.LBB3_20:                               ;   in Loop: Header=BB3_2 Depth=1
	s_or_saveexec_b64 s[6:7], s[18:19]
	v_mul_f32_e64 v2, |v4|, s31
	v_rndne_f32_e32 v37, v2
	s_xor_b64 exec, exec, s[6:7]
; %bb.21:                               ;   in Loop: Header=BB3_2 Depth=1
	v_cvt_i32_f32_e32 v33, v37
	v_fma_f32 v34, v37, s34, |v4|
	v_fmac_f32_e32 v34, 0xb3a22168, v37
	v_fmac_f32_e32 v34, 0xa7c234c4, v37
; %bb.22:                               ;   in Loop: Header=BB3_2 Depth=1
	s_or_b64 exec, exec, s[6:7]
                                        ; implicit-def: $vgpr2
                                        ; implicit-def: $vgpr32
	s_and_saveexec_b64 s[6:7], s[14:15]
	s_xor_b64 s[14:15], exec, s[6:7]
	s_cbranch_execz .LBB3_24
; %bb.23:                               ;   in Loop: Header=BB3_2 Depth=1
	v_cmp_lt_u32_e32 vcc, 63, v36
	v_cndmask_b32_e32 v2, 0, v13, vcc
	v_add_u32_e32 v2, v2, v36
	v_cmp_lt_u32_e64 s[6:7], 31, v2
	v_cndmask_b32_e64 v32, 0, v20, s[6:7]
	v_add_u32_e32 v2, v32, v2
	v_cmp_lt_u32_e64 s[8:9], 31, v2
	v_cndmask_b32_e64 v32, 0, v20, s[8:9]
	v_mad_u64_u32 v[36:37], s[10:11], v35, s23, 0
	v_add_u32_e32 v32, v32, v2
	v_mov_b32_e32 v2, v37
	v_mad_u64_u32 v[38:39], s[10:11], v35, s24, v[2:3]
	v_mov_b32_e32 v2, v39
	v_mad_u64_u32 v[40:41], s[10:11], v35, s25, v[2:3]
	v_mov_b32_e32 v2, v41
	v_mad_u64_u32 v[42:43], s[10:11], v35, s26, v[2:3]
	v_mov_b32_e32 v2, v43
	v_mad_u64_u32 v[44:45], s[10:11], v35, s27, v[2:3]
	v_mov_b32_e32 v2, v45
	v_mad_u64_u32 v[46:47], s[10:11], v35, s28, v[2:3]
	v_mov_b32_e32 v2, v47
	v_mad_u64_u32 v[48:49], s[10:11], v35, s29, v[2:3]
	v_cndmask_b32_e32 v37, v46, v42, vcc
	v_cndmask_b32_e32 v2, v48, v44, vcc
	;; [unrolled: 1-line block ×3, first 2 shown]
	v_cndmask_b32_e64 v35, v2, v37, s[6:7]
	v_cndmask_b32_e64 v2, v39, v2, s[6:7]
	v_cndmask_b32_e32 v39, v44, v40, vcc
	v_cndmask_b32_e64 v37, v37, v39, s[6:7]
	v_sub_u32_e32 v41, 32, v32
	v_cmp_eq_u32_e64 s[10:11], 0, v32
	v_cndmask_b32_e32 v32, v42, v38, vcc
	v_cndmask_b32_e64 v2, v2, v35, s[8:9]
	v_cndmask_b32_e64 v35, v35, v37, s[8:9]
	;; [unrolled: 1-line block ×3, first 2 shown]
	v_alignbit_b32 v43, v2, v35, v41
	v_cndmask_b32_e64 v37, v37, v38, s[8:9]
	v_cndmask_b32_e64 v2, v43, v2, s[10:11]
	v_alignbit_b32 v39, v35, v37, v41
	v_cndmask_b32_e32 v36, v40, v36, vcc
	v_cndmask_b32_e64 v35, v39, v35, s[10:11]
	v_bfe_u32 v43, v2, 29, 1
	v_cndmask_b32_e64 v32, v32, v36, s[6:7]
	v_alignbit_b32 v39, v2, v35, 30
	v_sub_u32_e32 v44, 0, v43
	v_cndmask_b32_e64 v32, v38, v32, s[8:9]
	v_xor_b32_e32 v45, v39, v44
	v_alignbit_b32 v36, v37, v32, v41
	v_cndmask_b32_e64 v36, v36, v37, s[10:11]
	v_ffbh_u32_e32 v37, v45
	v_add_u32_e32 v37, 1, v37
	v_cmp_ne_u32_e32 vcc, v39, v44
	v_alignbit_b32 v35, v35, v36, 30
	v_cndmask_b32_e32 v37, 33, v37, vcc
	v_alignbit_b32 v32, v36, v32, 30
	v_xor_b32_e32 v35, v35, v44
	v_sub_u32_e32 v38, 32, v37
	v_xor_b32_e32 v32, v32, v44
	v_alignbit_b32 v39, v45, v35, v38
	v_alignbit_b32 v32, v35, v32, v38
	v_alignbit_b32 v35, v39, v32, 9
	v_ffbh_u32_e32 v36, v35
	v_min_u32_e32 v36, 32, v36
	v_lshrrev_b32_e32 v42, 29, v2
	v_sub_u32_e32 v38, 31, v36
	v_alignbit_b32 v32, v35, v32, v38
	v_lshlrev_b32_e32 v35, 31, v42
	v_or_b32_e32 v38, 0x33800000, v35
	v_add_lshl_u32 v36, v36, v37, 23
	v_lshrrev_b32_e32 v32, 9, v32
	v_sub_u32_e32 v36, v38, v36
	v_or_b32_e32 v32, v36, v32
	v_alignbit_b32 v36, v37, v39, 9
	v_or_b32_e32 v35, v36, v35
	v_xor_b32_e32 v35, 1.0, v35
	v_mul_f32_e32 v36, 0x3fc90fda, v35
	v_fma_f32 v37, v35, s30, -v36
	v_fmac_f32_e32 v37, 0x33a22168, v35
	v_fmac_f32_e32 v37, 0x3fc90fda, v32
	v_lshrrev_b32_e32 v2, 30, v2
	v_add_f32_e32 v32, v36, v37
	v_add_u32_e32 v2, v43, v2
                                        ; implicit-def: $vgpr37
	s_andn2_saveexec_b64 s[6:7], s[14:15]
	s_cbranch_execz .LBB3_1
	s_branch .LBB3_25
.LBB3_24:                               ;   in Loop: Header=BB3_2 Depth=1
	s_andn2_saveexec_b64 s[6:7], s[14:15]
	s_cbranch_execz .LBB3_1
.LBB3_25:                               ;   in Loop: Header=BB3_2 Depth=1
	v_cvt_i32_f32_e32 v2, v37
	v_fma_f32 v32, v37, s34, |v4|
	v_fmac_f32_e32 v32, 0xb3a22168, v37
	v_fmac_f32_e32 v32, 0xa7c234c4, v37
	s_branch .LBB3_1
.LBB3_26:
	buffer_load_dword v0, off, s[0:3], 0 offset:148
	s_mov_b32 s31, 0
	s_movk_i32 s43, 0x46
	s_movk_i32 s44, 0x45
	s_mov_b32 s45, 0xf800000
	s_mov_b32 s34, 0x42340000
	;; [unrolled: 1-line block ×3, first 2 shown]
	v_mov_b32_e32 v91, 0
	v_mov_b32_e32 v92, 0x260
	;; [unrolled: 1-line block ×4, first 2 shown]
	s_waitcnt vmcnt(0)
	buffer_store_dword v0, off, s[0:3], 0 offset:384 ; 4-byte Folded Spill
	buffer_load_dword v113, off, s[0:3], 0 offset:152
	s_nop 0
	buffer_load_dword v0, off, s[0:3], 0 offset:156
	s_waitcnt vmcnt(0)
	buffer_store_dword v0, off, s[0:3], 0 offset:388 ; 4-byte Folded Spill
	buffer_load_dword v0, off, s[0:3], 0 offset:144
	s_waitcnt vmcnt(0)
	buffer_store_dword v0, off, s[0:3], 0 offset:392 ; 4-byte Folded Spill
	buffer_load_dword v0, off, s[0:3], 0 offset:140
	s_waitcnt vmcnt(0)
	buffer_store_dword v0, off, s[0:3], 0 offset:396 ; 4-byte Folded Spill
	buffer_load_dword v22, off, s[0:3], 0 offset:136
	s_nop 0
	buffer_load_dword v0, off, s[0:3], 0 offset:244
	s_waitcnt vmcnt(0)
	buffer_store_dword v0, off, s[0:3], 0 offset:400 ; 4-byte Folded Spill
	buffer_load_dword v25, off, s[0:3], 0 offset:248
	s_nop 0
	buffer_load_dword v0, off, s[0:3], 0 offset:252
	s_waitcnt vmcnt(0)
	buffer_store_dword v0, off, s[0:3], 0 offset:404 ; 4-byte Folded Spill
	buffer_load_dword v0, off, s[0:3], 0 offset:240
	s_waitcnt vmcnt(0)
	buffer_store_dword v0, off, s[0:3], 0 offset:408 ; 4-byte Folded Spill
	;; [unrolled: 3-line block ×3, first 2 shown]
	buffer_load_dword v26, off, s[0:3], 0 offset:232
	buffer_load_dword v29, off, s[0:3], 0 offset:276
	;; [unrolled: 1-line block ×3, first 2 shown]
	s_nop 0
	buffer_load_dword v0, off, s[0:3], 0 offset:284
	s_waitcnt vmcnt(0)
	buffer_store_dword v0, off, s[0:3], 0 offset:416 ; 4-byte Folded Spill
	buffer_load_dword v0, off, s[0:3], 0 offset:272
	s_waitcnt vmcnt(0)
	buffer_store_dword v0, off, s[0:3], 0 offset:420 ; 4-byte Folded Spill
	;; [unrolled: 3-line block ×3, first 2 shown]
	buffer_load_dword v31, off, s[0:3], 0 offset:264
	buffer_load_dword v33, off, s[0:3], 0 offset:260
	;; [unrolled: 1-line block ×9, first 2 shown]
	s_waitcnt vmcnt(0)
	buffer_store_dword v0, off, s[0:3], 0 offset:428 ; 4-byte Folded Spill
	buffer_load_dword v0, off, s[0:3], 0 offset:376
	s_waitcnt vmcnt(0)
	buffer_store_dword v0, off, s[0:3], 0 offset:432 ; 4-byte Folded Spill
	buffer_load_dword v0, off, s[0:3], 0 offset:380
	;; [unrolled: 3-line block ×4, first 2 shown]
	buffer_load_dword v39, off, s[0:3], 0 offset:360
	buffer_load_dword v42, off, s[0:3], 0 offset:40
	s_nop 0
	buffer_load_dword v0, off, s[0:3], 0 offset:44
	s_waitcnt vmcnt(0)
	buffer_store_dword v0, off, s[0:3], 0 offset:444 ; 4-byte Folded Spill
	buffer_load_dword v0, off, s[0:3], 0 offset:48
	s_waitcnt vmcnt(0)
	buffer_store_dword v0, off, s[0:3], 0 offset:448 ; 4-byte Folded Spill
	;; [unrolled: 3-line block ×3, first 2 shown]
	buffer_load_dword v45, off, s[0:3], 0 offset:56
	s_nop 0
	buffer_load_dword v0, off, s[0:3], 0 offset:52
	s_waitcnt vmcnt(0)
	buffer_store_dword v0, off, s[0:3], 0 offset:456 ; 4-byte Folded Spill
	buffer_load_dword v46, off, s[0:3], 0 offset:36
	s_nop 0
	buffer_load_dword v0, off, s[0:3], 0 offset:32
	s_waitcnt vmcnt(0)
	buffer_store_dword v0, off, s[0:3], 0 offset:460 ; 4-byte Folded Spill
	buffer_load_dword v0, off, s[0:3], 0 offset:64
	s_waitcnt vmcnt(0)
	buffer_store_dword v0, off, s[0:3], 0 offset:464 ; 4-byte Folded Spill
	buffer_load_dword v47, off, s[0:3], 0 offset:84
	buffer_load_dword v43, off, s[0:3], 0 offset:88
	s_nop 0
	buffer_load_dword v0, off, s[0:3], 0 offset:92
	s_waitcnt vmcnt(0)
	buffer_store_dword v0, off, s[0:3], 0 offset:468 ; 4-byte Folded Spill
	buffer_load_dword v0, off, s[0:3], 0 offset:80
	s_waitcnt vmcnt(0)
	buffer_store_dword v0, off, s[0:3], 0 offset:472 ; 4-byte Folded Spill
	buffer_load_dword v0, off, s[0:3], 0 offset:76
	s_waitcnt vmcnt(0)
	buffer_store_dword v0, off, s[0:3], 0 offset:476 ; 4-byte Folded Spill
	buffer_load_dword v49, off, s[0:3], 0 offset:72
	s_nop 0
	buffer_load_dword v0, off, s[0:3], 0 offset:68
	s_waitcnt vmcnt(0)
	buffer_store_dword v0, off, s[0:3], 0 offset:480 ; 4-byte Folded Spill
	buffer_load_dword v0, off, s[0:3], 0 offset:96
	s_waitcnt vmcnt(0)
	buffer_store_dword v0, off, s[0:3], 0 offset:484 ; 4-byte Folded Spill
	buffer_load_dword v0, off, s[0:3], 0 offset:116
	s_waitcnt vmcnt(0)
	buffer_store_dword v0, off, s[0:3], 0 offset:488 ; 4-byte Folded Spill
	;; [unrolled: 11-line block ×3, first 2 shown]
	buffer_load_dword v112, off, s[0:3], 0 offset:104
	s_nop 0
	buffer_load_dword v0, off, s[0:3], 0 offset:100
	s_waitcnt vmcnt(0)
	buffer_store_dword v0, off, s[0:3], 0 offset:504 ; 4-byte Folded Spill
	buffer_load_dword v52, off, s[0:3], 0 offset:132
	s_nop 0
	buffer_load_dword v0, off, s[0:3], 0 offset:128
	s_waitcnt vmcnt(0)
	buffer_store_dword v0, off, s[0:3], 0 offset:508 ; 4-byte Folded Spill
	buffer_load_dword v0, off, s[0:3], 0 offset:160
	s_waitcnt vmcnt(0)
	buffer_store_dword v0, off, s[0:3], 0 offset:512 ; 4-byte Folded Spill
	buffer_load_dword v53, off, s[0:3], 0 offset:180
	buffer_load_dword v23, off, s[0:3], 0 offset:184
	s_nop 0
	buffer_load_dword v0, off, s[0:3], 0 offset:188
	s_waitcnt vmcnt(0)
	buffer_store_dword v0, off, s[0:3], 0 offset:516 ; 4-byte Folded Spill
	buffer_load_dword v114, off, s[0:3], 0 offset:176
	buffer_load_dword v115, off, s[0:3], 0 offset:172
	;; [unrolled: 1-line block ×14, first 2 shown]
	buffer_load_dword v124, off, s[0:3], 0
	buffer_load_dword v125, off, s[0:3], 0 offset:4
	buffer_load_dword v44, off, s[0:3], 0 offset:8
	;; [unrolled: 1-line block ×20, first 2 shown]
	s_load_dwordx2 s[6:7], s[4:5], 0x0
	s_load_dwordx4 s[24:27], s[4:5], 0x48
	s_waitcnt lgkmcnt(0)
	s_max_i32 s35, s7, 1
	s_max_i32 s42, s6, 1
	s_add_u32 s28, s36, 8
	s_addc_u32 s29, s37, 0
.LBB3_27:                               ; =>This Loop Header: Depth=1
                                        ;     Child Loop BB3_28 Depth 2
	s_lshl_b64 s[4:5], s[30:31], 4
	s_add_u32 s4, s38, s4
	s_addc_u32 s5, s39, s5
	global_load_dwordx4 v[0:3], v91, s[4:5]
	s_mov_b32 s46, s35
	s_mov_b64 s[36:37], s[28:29]
	s_waitcnt vmcnt(0)
	v_ashrrev_i32_e32 v5, 31, v3
	v_mov_b32_e32 v4, v3
	buffer_load_dword v3, off, s[0:3], 0 offset:444 ; 4-byte Folded Reload
	buffer_load_dword v7, off, s[0:3], 0 offset:460 ; 4-byte Folded Reload
	v_pk_mul_f32 v[56:57], v[0:1], v[32:33]
	v_fma_f32 v6, v0, v124, v126
	v_fma_f32 v8, v0, v127, v13
	;; [unrolled: 1-line block ×7, first 2 shown]
	v_fmac_f32_e32 v6, v1, v125
	v_fmac_f32_e32 v8, v1, v12
	;; [unrolled: 1-line block ×10, first 2 shown]
	s_waitcnt vmcnt(0)
	v_fma_f32 v10, v0, v7, v3
	buffer_load_dword v3, off, s[0:3], 0 offset:448 ; 4-byte Folded Reload
	buffer_load_dword v7, off, s[0:3], 0 offset:452 ; 4-byte Folded Reload
	s_waitcnt vmcnt(0)
	v_fma_f32 v7, v0, v3, v7
	buffer_load_dword v3, off, s[0:3], 0 offset:464 ; 4-byte Folded Reload
	buffer_load_dword v9, off, s[0:3], 0 offset:476 ; 4-byte Folded Reload
	;; [unrolled: 4-line block ×4, first 2 shown]
	v_pk_fma_f32 v[10:11], v[0:1], v[46:47], v[10:11] op_sel:[1,0,0]
	s_waitcnt vmcnt(0)
	v_fma_f32 v60, v0, v3, v54
	buffer_load_dword v3, off, s[0:3], 0 offset:492 ; 4-byte Folded Reload
	buffer_load_dword v54, off, s[0:3], 0 offset:496 ; 4-byte Folded Reload
	s_waitcnt vmcnt(0)
	v_fma_f32 v62, v0, v54, v3
	buffer_load_dword v3, off, s[0:3], 0 offset:396 ; 4-byte Folded Reload
	buffer_load_dword v54, off, s[0:3], 0 offset:508 ; 4-byte Folded Reload
	;; [unrolled: 4-line block ×3, first 2 shown]
	s_waitcnt vmcnt(0)
	v_fma_f32 v61, v0, v55, v3
	buffer_load_dword v3, off, s[0:3], 0 offset:512 ; 4-byte Folded Reload
	s_waitcnt vmcnt(0)
	v_fma_f32 v63, v0, v3, v115
	buffer_load_dword v3, off, s[0:3], 0 offset:516 ; 4-byte Folded Reload
	v_fmac_f32_e32 v63, v1, v116
	s_waitcnt vmcnt(0)
	v_fma_f32 v55, v0, v114, v3
	buffer_load_dword v3, off, s[0:3], 0 offset:424 ; 4-byte Folded Reload
	v_pk_fma_f32 v[64:65], v[0:1], v[52:53], v[54:55] op_sel:[1,0,0]
	v_pk_fma_f32 v[54:55], v[0:1], v[40:41], v[36:37] op_sel_hi:[0,1,1]
	v_pk_fma_f32 v[70:71], v[0:1], v[34:35], v[54:55] op_sel:[1,0,0]
	s_waitcnt vmcnt(0)
	v_add_f32_e32 v3, v3, v56
	v_add_f32_e32 v73, v3, v57
	buffer_load_dword v3, off, s[0:3], 0 offset:412 ; 4-byte Folded Reload
	s_waitcnt vmcnt(0)
	v_fma_f32 v56, v0, v123, v3
	buffer_load_dword v3, off, s[0:3], 0 offset:404 ; 4-byte Folded Reload
	buffer_load_dword v57, off, s[0:3], 0 offset:408 ; 4-byte Folded Reload
	s_waitcnt vmcnt(0)
	v_fma_f32 v67, v0, v57, v3
	buffer_load_dword v3, off, s[0:3], 0 offset:416 ; 4-byte Folded Reload
	;; [unrolled: 4-line block ×3, first 2 shown]
	v_pk_fma_f32 v[68:69], v[0:1], v[28:29], v[56:57] op_sel:[1,0,0]
	s_waitcnt vmcnt(0)
	v_fmac_f32_e32 v7, v1, v3
	buffer_load_dword v3, off, s[0:3], 0 offset:480 ; 4-byte Folded Reload
	s_waitcnt vmcnt(0)
	v_fmac_f32_e32 v9, v1, v3
	buffer_load_dword v3, off, s[0:3], 0 offset:504 ; 4-byte Folded Reload
	;; [unrolled: 3-line block ×6, first 2 shown]
	buffer_load_dword v54, off, s[0:3], 0 offset:440 ; 4-byte Folded Reload
	s_waitcnt vmcnt(1)
	v_pk_fma_f32 v[56:57], v[2:3], v[48:49], v[8:9] op_sel_hi:[0,1,1]
	s_waitcnt vmcnt(0)
	v_fma_f32 v98, v0, v54, v3
	buffer_load_dword v0, off, s[0:3], 0 offset:428 ; 4-byte Folded Reload
	v_pk_fma_f32 v[54:55], v[2:3], v[44:45], v[6:7] op_sel_hi:[0,1,1]
	v_pk_fma_f32 v[58:59], v[2:3], v[42:43], v[10:11] op_sel_hi:[0,1,1]
	;; [unrolled: 1-line block ×9, first 2 shown]
	s_waitcnt vmcnt(0)
	v_fmac_f32_e32 v98, v1, v0
	buffer_load_dword v0, off, s[0:3], 0 offset:432 ; 4-byte Folded Reload
	s_waitcnt vmcnt(0)
	v_fmac_f32_e32 v98, v2, v0
	v_lshlrev_b64 v[0:1], 4, v[4:5]
	v_mov_b32_e32 v2, s27
	v_add_co_u32_e32 v0, vcc, s26, v0
	v_addc_co_u32_e32 v1, vcc, v2, v1, vcc
	global_load_dwordx4 v[0:3], v[0:1], off
	s_waitcnt vmcnt(0)
	v_cmp_eq_u32_e64 s[8:9], s43, v0
	v_cmp_eq_u32_e64 s[10:11], s44, v0
	v_cmp_gt_f32_e64 s[12:13], 0, v2
	v_mov_b32_e32 v0, 0x40b00000
	v_cndmask_b32_e64 v99, 1.0, v0, s[12:13]
	v_mov_b32_e32 v0, 0xff7fffff
	v_cmp_lt_f32_e64 s[6:7], 0, v2
	v_cndmask_b32_e64 v100, v0, 1.0, s[12:13]
	v_mov_b32_e32 v74, v3
.LBB3_28:                               ;   Parent Loop BB3_27 Depth=1
                                        ; =>  This Inner Loop Header: Depth=2
	global_load_dwordx4 v[4:7], v91, s[36:37] offset:-8
	v_mov_b32_e32 v0, s27
	s_waitcnt vmcnt(0)
	v_ashrrev_i32_e32 v9, 31, v7
	v_mov_b32_e32 v8, v7
	v_lshlrev_b64 v[8:9], 4, v[8:9]
	v_add_co_u32_e32 v8, vcc, s26, v8
	v_addc_co_u32_e32 v9, vcc, v0, v9, vcc
	global_load_dwordx4 v[8:11], v[8:9], off
	v_pk_add_f32 v[104:105], v[70:71], v[4:5] neg_lo:[0,1] neg_hi:[0,1]
	v_pk_mul_f32 v[104:105], v[104:105], v[104:105]
	v_pk_add_f32 v[110:111], v[56:57], v[4:5] op_sel:[0,1] neg_lo:[0,1] neg_hi:[0,1]
	v_pk_add_f32 v[108:109], v[54:55], v[4:5] op_sel_hi:[1,0] neg_lo:[0,1] neg_hi:[0,1]
	v_pk_mul_f32 v[110:111], v[110:111], v[110:111]
	v_pk_fma_f32 v[108:109], v[108:109], v[108:109], v[110:111]
	s_waitcnt vmcnt(0)
	v_add_f32_e32 v80, v1, v9
	v_div_scale_f32 v0, s[4:5], v80, v80, 1.0
	v_rcp_f32_e32 v3, v0
	v_cmp_lt_f32_e64 s[4:5], 0, v10
	s_and_b64 s[4:5], s[4:5], s[12:13]
	v_cmp_neq_f32_e64 s[14:15], 0, v10
	v_fma_f32 v7, -v0, v3, 1.0
	v_fmac_f32_e32 v3, v7, v3
	v_div_scale_f32 v7, vcc, 1.0, v80, 1.0
	v_mul_f32_e32 v9, v7, v3
	v_fma_f32 v75, -v0, v9, v7
	v_fmac_f32_e32 v9, v75, v3
	v_fma_f32 v0, -v0, v9, v7
	v_div_fmas_f32 v0, v0, v3, v9
	v_cmp_eq_u32_e32 vcc, s43, v8
	s_and_b64 vcc, vcc, s[8:9]
	v_cndmask_b32_e64 v9, 2.0, 4.0, vcc
	v_cndmask_b32_e32 v76, 0.5, v93, vcc
	v_cmp_eq_u32_e32 vcc, s44, v8
	s_or_b64 s[40:41], vcc, s[10:11]
	v_cmp_gt_f32_e32 vcc, 0, v10
	v_cndmask_b32_e32 v3, v100, v99, vcc
	s_and_b64 s[18:19], vcc, s[6:7]
	v_cndmask_b32_e64 v7, v2, -v2, s[4:5]
	v_div_scale_f32 v8, s[4:5], v3, v3, 1.0
	v_div_fixup_f32 v78, v0, v80, 1.0
	v_cndmask_b32_e64 v0, v10, -v10, s[18:19]
	v_rcp_f32_e32 v10, v8
	v_add_f32_e32 v0, v0, v7
	v_sub_f32_e32 v7, v97, v6
	v_mov_b32_e32 v106, v11
	v_fma_f32 v75, -v8, v10, 1.0
	v_fmac_f32_e32 v10, v75, v10
	v_div_scale_f32 v75, vcc, 1.0, v3, 1.0
	v_mul_f32_e32 v101, v75, v10
	v_fma_f32 v102, -v8, v101, v75
	v_fmac_f32_e32 v101, v102, v10
	v_fma_f32 v8, -v8, v101, v75
	v_div_fmas_f32 v8, v8, v10, v101
	v_sub_f32_e32 v101, v96, v5
	v_sub_f32_e32 v75, v95, v4
	v_mul_f32_e32 v101, v101, v101
	v_fmac_f32_e32 v101, v75, v75
	v_fmac_f32_e32 v101, v7, v7
	v_cmp_gt_f32_e32 vcc, s45, v101
	v_mul_f32_e32 v7, 0x4f800000, v101
	v_cndmask_b32_e32 v7, v101, v7, vcc
	v_sqrt_f32_e32 v75, v7
	v_div_fixup_f32 v8, v8, v3, 1.0
	v_sub_f32_e32 v10, v98, v6
	v_add_u32_e32 v101, -1, v75
	v_fma_f32 v102, -v101, v75, v7
	v_cmp_ge_f32_e64 s[4:5], 0, v102
	v_add_u32_e32 v102, 1, v75
	v_cndmask_b32_e64 v101, v75, v101, s[4:5]
	v_fma_f32 v75, -v102, v75, v7
	v_cmp_lt_f32_e64 s[4:5], 0, v75
	v_cndmask_b32_e64 v75, v101, v102, s[4:5]
	v_mul_f32_e32 v101, 0x37800000, v75
	v_cndmask_b32_e32 v75, v75, v101, vcc
	v_cmp_class_f32_e32 vcc, v7, v92
	v_cndmask_b32_e32 v7, v75, v7, vcc
	v_sub_f32_e32 v75, v7, v80
	v_cmp_gt_f32_e32 vcc, 0, v75
	v_fma_f32 v7, -v78, v7, 1.0
	v_cndmask_b32_e32 v101, 0, v94, vcc
	v_fmac_f32_e32 v79, v7, v101
	v_fma_f32 v7, -v76, v75, 1.0
	v_cmp_lt_f32_e64 s[4:5], v75, v9
	v_cndmask_b32_e64 v7, v7, 1.0, vcc
	v_cndmask_b32_e64 v101, 0, 1.0, s[4:5]
	v_mul_f32_e32 v101, v101, v7
	v_fma_f32 v7, -v8, v75, 1.0
	v_cndmask_b32_e64 v103, v7, 1.0, vcc
	v_add_f32_e32 v7, v104, v105
	v_fmac_f32_e32 v7, v10, v10
	v_cmp_gt_f32_e32 vcc, s45, v7
	v_mul_f32_e32 v10, 0x4f800000, v7
	v_cndmask_b32_e32 v7, v7, v10, vcc
	v_sqrt_f32_e32 v10, v7
	v_cmp_lt_f32_e64 s[4:5], v75, v3
	s_and_b64 s[4:5], s[14:15], s[4:5]
	v_cndmask_b32_e64 v75, 0, 1.0, s[4:5]
	v_mul_f32_e32 v102, v0, v75
	v_add_u32_e32 v75, -1, v10
	v_fma_f32 v104, -v75, v10, v7
	v_cmp_ge_f32_e64 s[4:5], 0, v104
	v_add_u32_e32 v104, 1, v10
	v_cndmask_b32_e64 v75, v10, v75, s[4:5]
	v_fma_f32 v10, -v104, v10, v7
	v_cmp_lt_f32_e64 s[4:5], 0, v10
	v_cndmask_b32_e64 v10, v75, v104, s[4:5]
	v_mul_f32_e32 v75, 0x37800000, v10
	v_cndmask_b32_e32 v10, v10, v75, vcc
	v_cmp_class_f32_e32 vcc, v7, v92
	v_cndmask_b32_e32 v7, v10, v7, vcc
	v_sub_f32_e32 v104, v7, v80
	v_cmp_gt_f32_e32 vcc, 0, v104
	v_fma_f32 v7, -v78, v7, 1.0
	v_cndmask_b32_e32 v10, 0, v94, vcc
	v_fmac_f32_e32 v77, v7, v10
	v_fma_f32 v7, -v76, v104, 1.0
	v_cmp_lt_f32_e64 s[4:5], v104, v9
	v_cndmask_b32_e64 v107, v7, 1.0, vcc
	v_cndmask_b32_e64 v75, 0, 1.0, s[4:5]
	v_pk_mul_f32 v[10:11], v[74:75], v[106:107]
	v_pk_add_f32 v[106:107], v[58:59], v[6:7] op_sel_hi:[1,0] neg_lo:[0,1] neg_hi:[0,1]
	v_pk_fma_f32 v[106:107], v[106:107], v[106:107], v[108:109]
	v_cmp_gt_f32_e64 s[4:5], s45, v107
	v_mul_f32_e32 v7, 0x4f800000, v107
	v_cndmask_b32_e64 v7, v107, v7, s[4:5]
	v_sqrt_f32_e32 v75, v7
	v_add_u32_e32 v105, -1, v75
	v_fma_f32 v107, -v105, v75, v7
	v_cmp_ge_f32_e64 s[18:19], 0, v107
	v_add_u32_e32 v107, 1, v75
	v_cndmask_b32_e64 v105, v75, v105, s[18:19]
	v_fma_f32 v75, -v107, v75, v7
	v_cmp_lt_f32_e64 s[18:19], 0, v75
	v_cndmask_b32_e64 v75, v105, v107, s[18:19]
	v_mul_f32_e32 v105, 0x37800000, v75
	v_cndmask_b32_e64 v75, v75, v105, s[4:5]
	v_cmp_class_f32_e64 s[4:5], v7, v92
	v_cndmask_b32_e64 v107, v75, v7, s[4:5]
	v_cmp_gt_f32_e64 s[4:5], s45, v106
	v_mul_f32_e32 v7, 0x4f800000, v106
	v_cndmask_b32_e64 v7, v106, v7, s[4:5]
	v_sqrt_f32_e32 v75, v7
	v_add_u32_e32 v105, -1, v75
	v_fma_f32 v106, -v105, v75, v7
	v_cmp_ge_f32_e64 s[18:19], 0, v106
	v_add_u32_e32 v106, 1, v75
	v_cndmask_b32_e64 v105, v75, v105, s[18:19]
	v_fma_f32 v75, -v106, v75, v7
	v_cmp_lt_f32_e64 s[18:19], 0, v75
	v_cndmask_b32_e64 v75, v105, v106, s[18:19]
	v_mul_f32_e32 v105, 0x37800000, v75
	v_cndmask_b32_e64 v75, v75, v105, s[4:5]
	v_cmp_class_f32_e64 s[4:5], v7, v92
	v_cndmask_b32_e64 v106, v75, v7, s[4:5]
	v_pk_add_f32 v[108:109], v[106:107], v[80:81] op_sel_hi:[1,0] neg_lo:[0,1] neg_hi:[0,1]
	v_cmp_gt_f32_e64 s[4:5], 0, v108
	v_cmp_gt_f32_e64 s[18:19], 0, v109
	v_pk_fma_f32 v[106:107], v[78:79], v[106:107], 1.0 op_sel_hi:[0,1,0] neg_lo:[1,0,0] neg_hi:[1,0,0]
	v_cndmask_b32_e64 v111, 0, v94, s[18:19]
	v_cndmask_b32_e64 v110, 0, v94, s[4:5]
	v_pk_fma_f32 v[18:19], v[106:107], v[110:111], v[18:19]
	v_pk_fma_f32 v[106:107], v[76:77], v[108:109], 1.0 op_sel_hi:[0,1,0] neg_lo:[1,0,0] neg_hi:[1,0,0]
	v_cmp_lt_f32_e64 s[20:21], v108, v9
	v_cmp_lt_f32_e64 s[22:23], v109, v9
	v_cndmask_b32_e64 v107, v107, 1.0, s[18:19]
	v_cndmask_b32_e64 v106, v106, 1.0, s[4:5]
	;; [unrolled: 1-line block ×4, first 2 shown]
	v_pk_mul_f32 v[106:107], v[110:111], v[106:107]
	v_cmp_lt_f32_e64 s[20:21], v109, v3
	v_cmp_lt_f32_e64 s[22:23], v108, v3
	s_and_b64 s[22:23], s[14:15], s[22:23]
	s_and_b64 s[20:21], s[14:15], s[20:21]
	v_pk_mul_f32 v[106:107], v[10:11], v[106:107] op_sel_hi:[0,1]
	v_pk_fma_f32 v[110:111], v[8:9], v[108:109], 1.0 op_sel_hi:[0,1,0] neg_lo:[1,0,0] neg_hi:[1,0,0]
	v_cndmask_b32_e64 v109, 0, 1.0, s[20:21]
	v_cndmask_b32_e64 v108, 0, 1.0, s[22:23]
	v_cndmask_b32_e64 v107, v107, -|v107|, s[40:41]
	v_cndmask_b32_e64 v106, v106, -|v106|, s[40:41]
	v_pk_mul_f32 v[108:109], v[0:1], v[108:109] op_sel_hi:[0,1]
	v_cndmask_b32_e64 v111, v111, 1.0, s[18:19]
	v_cndmask_b32_e64 v110, v110, 1.0, s[4:5]
	v_pk_fma_f32 v[18:19], v[106:107], s[34:35], v[18:19] op_sel_hi:[1,0,1]
	v_pk_fma_f32 v[18:19], v[110:111], v[108:109], v[18:19]
	v_pk_add_f32 v[110:111], v[62:63], v[4:5] op_sel:[0,1] neg_lo:[0,1] neg_hi:[0,1]
	v_pk_add_f32 v[108:109], v[60:61], v[4:5] op_sel_hi:[1,0] neg_lo:[0,1] neg_hi:[0,1]
	v_pk_mul_f32 v[110:111], v[110:111], v[110:111]
	v_pk_add_f32 v[106:107], v[64:65], v[6:7] op_sel_hi:[1,0] neg_lo:[0,1] neg_hi:[0,1]
	v_pk_fma_f32 v[108:109], v[108:109], v[108:109], v[110:111]
	v_pk_fma_f32 v[106:107], v[106:107], v[106:107], v[108:109]
	v_cmp_gt_f32_e64 s[4:5], s45, v107
	v_mul_f32_e32 v7, 0x4f800000, v107
	v_cndmask_b32_e64 v7, v107, v7, s[4:5]
	v_sqrt_f32_e32 v75, v7
	v_add_u32_e32 v105, -1, v75
	v_fma_f32 v107, -v105, v75, v7
	v_cmp_ge_f32_e64 s[18:19], 0, v107
	v_add_u32_e32 v107, 1, v75
	v_cndmask_b32_e64 v105, v75, v105, s[18:19]
	v_fma_f32 v75, -v107, v75, v7
	v_cmp_lt_f32_e64 s[18:19], 0, v75
	v_cndmask_b32_e64 v75, v105, v107, s[18:19]
	v_mul_f32_e32 v105, 0x37800000, v75
	v_cndmask_b32_e64 v75, v75, v105, s[4:5]
	v_cmp_class_f32_e64 s[4:5], v7, v92
	v_cndmask_b32_e64 v107, v75, v7, s[4:5]
	v_cmp_gt_f32_e64 s[4:5], s45, v106
	v_mul_f32_e32 v7, 0x4f800000, v106
	v_cndmask_b32_e64 v7, v106, v7, s[4:5]
	v_sqrt_f32_e32 v75, v7
	v_add_u32_e32 v105, -1, v75
	v_fma_f32 v106, -v105, v75, v7
	v_cmp_ge_f32_e64 s[18:19], 0, v106
	v_add_u32_e32 v106, 1, v75
	v_cndmask_b32_e64 v105, v75, v105, s[18:19]
	v_fma_f32 v75, -v106, v75, v7
	v_cmp_lt_f32_e64 s[18:19], 0, v75
	v_cndmask_b32_e64 v75, v105, v106, s[18:19]
	v_mul_f32_e32 v105, 0x37800000, v75
	v_cndmask_b32_e64 v75, v75, v105, s[4:5]
	v_cmp_class_f32_e64 s[4:5], v7, v92
	v_cndmask_b32_e64 v106, v75, v7, s[4:5]
	v_pk_add_f32 v[108:109], v[106:107], v[80:81] op_sel_hi:[1,0] neg_lo:[0,1] neg_hi:[0,1]
	v_cmp_gt_f32_e64 s[4:5], 0, v108
	v_cmp_gt_f32_e64 s[18:19], 0, v109
	v_pk_fma_f32 v[106:107], v[78:79], v[106:107], 1.0 op_sel_hi:[0,1,0] neg_lo:[1,0,0] neg_hi:[1,0,0]
	v_cndmask_b32_e64 v111, 0, v94, s[18:19]
	v_cndmask_b32_e64 v110, 0, v94, s[4:5]
	v_pk_fma_f32 v[14:15], v[106:107], v[110:111], v[14:15]
	v_pk_fma_f32 v[106:107], v[76:77], v[108:109], 1.0 op_sel_hi:[0,1,0] neg_lo:[1,0,0] neg_hi:[1,0,0]
	v_cmp_lt_f32_e64 s[20:21], v108, v9
	v_cmp_lt_f32_e64 s[22:23], v109, v9
	v_cndmask_b32_e64 v107, v107, 1.0, s[18:19]
	v_cndmask_b32_e64 v106, v106, 1.0, s[4:5]
	;; [unrolled: 1-line block ×4, first 2 shown]
	v_pk_mul_f32 v[106:107], v[110:111], v[106:107]
	v_pk_mul_f32 v[106:107], v[10:11], v[106:107] op_sel_hi:[0,1]
	v_cndmask_b32_e64 v107, v107, -|v107|, s[40:41]
	v_cndmask_b32_e64 v106, v106, -|v106|, s[40:41]
	v_pk_fma_f32 v[14:15], v[106:107], s[34:35], v[14:15] op_sel_hi:[1,0,1]
	v_pk_add_f32 v[106:107], v[66:67], v[4:5] op_sel_hi:[1,0] neg_lo:[0,1] neg_hi:[0,1]
	v_pk_add_f32 v[4:5], v[72:73], v[4:5] op_sel:[0,1] neg_lo:[0,1] neg_hi:[0,1]
	v_pk_mul_f32 v[4:5], v[4:5], v[4:5]
	v_pk_add_f32 v[6:7], v[68:69], v[6:7] op_sel_hi:[1,0] neg_lo:[0,1] neg_hi:[0,1]
	v_pk_fma_f32 v[4:5], v[106:107], v[106:107], v[4:5]
	v_pk_fma_f32 v[110:111], v[8:9], v[108:109], 1.0 op_sel_hi:[0,1,0] neg_lo:[1,0,0] neg_hi:[1,0,0]
	v_pk_fma_f32 v[4:5], v[6:7], v[6:7], v[4:5]
	v_cndmask_b32_e64 v110, v110, 1.0, s[4:5]
	v_cmp_gt_f32_e64 s[4:5], s45, v5
	v_mul_f32_e32 v6, 0x4f800000, v5
	v_cndmask_b32_e64 v5, v5, v6, s[4:5]
	v_sqrt_f32_e32 v6, v5
	v_cndmask_b32_e64 v111, v111, 1.0, s[18:19]
	v_cmp_lt_f32_e64 s[20:21], v109, v3
	v_cmp_lt_f32_e64 s[22:23], v108, v3
	v_add_u32_e32 v7, -1, v6
	v_fma_f32 v75, -v7, v6, v5
	v_cmp_ge_f32_e64 s[18:19], 0, v75
	v_add_u32_e32 v75, 1, v6
	v_cndmask_b32_e64 v7, v6, v7, s[18:19]
	v_fma_f32 v6, -v75, v6, v5
	v_cmp_lt_f32_e64 s[18:19], 0, v6
	v_cndmask_b32_e64 v6, v7, v75, s[18:19]
	v_mul_f32_e32 v7, 0x37800000, v6
	v_cndmask_b32_e64 v6, v6, v7, s[4:5]
	v_cmp_class_f32_e64 s[4:5], v5, v92
	v_cndmask_b32_e64 v5, v6, v5, s[4:5]
	v_cmp_gt_f32_e64 s[4:5], s45, v4
	v_mul_f32_e32 v6, 0x4f800000, v4
	v_cndmask_b32_e64 v4, v4, v6, s[4:5]
	v_sqrt_f32_e32 v6, v4
	s_and_b64 s[22:23], s[14:15], s[22:23]
	s_and_b64 s[20:21], s[14:15], s[20:21]
	v_cndmask_b32_e64 v109, 0, 1.0, s[20:21]
	v_add_u32_e32 v7, -1, v6
	v_fma_f32 v75, -v7, v6, v4
	v_cmp_ge_f32_e64 s[18:19], 0, v75
	v_add_u32_e32 v75, 1, v6
	v_cndmask_b32_e64 v7, v6, v7, s[18:19]
	v_fma_f32 v6, -v75, v6, v4
	v_cmp_lt_f32_e64 s[18:19], 0, v6
	v_cndmask_b32_e64 v6, v7, v75, s[18:19]
	v_mul_f32_e32 v7, 0x37800000, v6
	v_cndmask_b32_e64 v6, v6, v7, s[4:5]
	v_cmp_class_f32_e64 s[4:5], v4, v92
	v_cndmask_b32_e64 v4, v6, v4, s[4:5]
	v_pk_add_f32 v[6:7], v[4:5], v[80:81] op_sel_hi:[1,0] neg_lo:[0,1] neg_hi:[0,1]
	v_cmp_gt_f32_e64 s[4:5], 0, v6
	v_cmp_gt_f32_e64 s[18:19], 0, v7
	v_pk_fma_f32 v[4:5], v[78:79], v[4:5], 1.0 op_sel_hi:[0,1,0] neg_lo:[1,0,0] neg_hi:[1,0,0]
	v_cndmask_b32_e64 v107, 0, v94, s[18:19]
	v_cndmask_b32_e64 v106, 0, v94, s[4:5]
	v_cndmask_b32_e64 v108, 0, 1.0, s[22:23]
	v_pk_fma_f32 v[4:5], v[4:5], v[106:107], v[16:17]
	v_pk_fma_f32 v[16:17], v[76:77], v[6:7], 1.0 op_sel_hi:[0,1,0] neg_lo:[1,0,0] neg_hi:[1,0,0]
	v_cmp_lt_f32_e64 s[20:21], v6, v9
	v_cmp_lt_f32_e64 s[22:23], v7, v9
	v_cndmask_b32_e64 v17, v17, 1.0, s[18:19]
	v_cndmask_b32_e64 v16, v16, 1.0, s[4:5]
	;; [unrolled: 1-line block ×4, first 2 shown]
	v_pk_mul_f32 v[16:17], v[106:107], v[16:17]
	v_cmp_lt_f32_e64 s[20:21], v7, v3
	v_cmp_lt_f32_e64 s[22:23], v6, v3
	s_and_b64 s[22:23], s[14:15], s[22:23]
	s_and_b64 s[20:21], s[14:15], s[20:21]
	v_pk_mul_f32 v[16:17], v[10:11], v[16:17] op_sel_hi:[0,1]
	v_pk_fma_f32 v[106:107], v[8:9], v[6:7], 1.0 op_sel_hi:[0,1,0] neg_lo:[1,0,0] neg_hi:[1,0,0]
	v_cndmask_b32_e64 v7, 0, 1.0, s[20:21]
	v_cndmask_b32_e64 v6, 0, 1.0, s[22:23]
	v_cndmask_b32_e64 v17, v17, -|v17|, s[40:41]
	v_cndmask_b32_e64 v16, v16, -|v16|, s[40:41]
	v_pk_mul_f32 v[6:7], v[0:1], v[6:7] op_sel_hi:[0,1]
	v_cndmask_b32_e64 v107, v107, 1.0, s[18:19]
	v_cndmask_b32_e64 v106, v106, 1.0, s[4:5]
	v_pk_fma_f32 v[4:5], v[16:17], s[34:35], v[4:5] op_sel_hi:[1,0,1]
	v_pk_fma_f32 v[16:17], v[106:107], v[6:7], v[4:5]
	v_mul_f32_e32 v4, v10, v101
	v_cndmask_b32_e64 v4, v4, -|v4|, s[40:41]
	v_fmac_f32_e32 v79, 0x42340000, v4
	v_mul_f32_e32 v4, v10, v11
	v_cmp_lt_f32_e64 s[4:5], v104, v3
	v_cndmask_b32_e64 v4, v4, -|v4|, s[40:41]
	s_and_b64 s[4:5], s[14:15], s[4:5]
	v_fmac_f32_e32 v77, 0x42340000, v4
	v_fma_f32 v4, -v8, v104, 1.0
	v_cndmask_b32_e64 v3, 0, 1.0, s[4:5]
	s_add_u32 s36, s36, 16
	v_pk_mul_f32 v[108:109], v[0:1], v[108:109] op_sel_hi:[0,1]
	v_mul_f32_e32 v0, v0, v3
	v_cndmask_b32_e64 v3, v4, 1.0, vcc
	s_addc_u32 s37, s37, 0
	s_add_i32 s46, s46, -1
	v_pk_fma_f32 v[14:15], v[110:111], v[108:109], v[14:15]
	v_fmac_f32_e32 v79, v103, v102
	v_fmac_f32_e32 v77, v3, v0
	s_cmp_lg_u32 s46, 0
	s_cbranch_scc1 .LBB3_28
; %bb.29:                               ;   in Loop: Header=BB3_27 Depth=1
	s_add_i32 s30, s30, 1
	s_cmp_lg_u32 s30, s42
	s_cbranch_scc1 .LBB3_27
; %bb.30:
	s_and_saveexec_b64 s[4:5], s[16:17]
	s_cbranch_execz .LBB3_32
; %bb.31:
	buffer_load_dword v0, off, s[0:3], 0 offset:520 ; 4-byte Folded Reload
	buffer_load_dword v1, off, s[0:3], 0 offset:524 ; 4-byte Folded Reload
	v_mov_b32_e32 v5, 0
	v_mov_b32_e32 v3, s25
	v_mul_f32_e32 v2, 0.5, v18
	s_waitcnt vmcnt(1)
	v_mov_b32_e32 v4, v0
	s_waitcnt vmcnt(0)
	v_lshlrev_b64 v[0:1], 2, v[4:5]
	v_add_co_u32_e32 v0, vcc, s24, v0
	v_addc_co_u32_e32 v1, vcc, v3, v1, vcc
	v_add_u32_e32 v4, s33, v4
	global_store_dword v[0:1], v2, off
	v_lshlrev_b64 v[0:1], 2, v[4:5]
	v_add_co_u32_e32 v0, vcc, s24, v0
	v_mul_f32_e32 v2, 0.5, v19
	v_addc_co_u32_e32 v1, vcc, v3, v1, vcc
	v_add_u32_e32 v4, s33, v4
	global_store_dword v[0:1], v2, off
	v_lshlrev_b64 v[0:1], 2, v[4:5]
	v_add_co_u32_e32 v0, vcc, s24, v0
	v_mul_f32_e32 v2, 0.5, v14
	v_addc_co_u32_e32 v1, vcc, v3, v1, vcc
	v_add_u32_e32 v4, s33, v4
	global_store_dword v[0:1], v2, off
	v_lshlrev_b64 v[0:1], 2, v[4:5]
	v_add_co_u32_e32 v0, vcc, s24, v0
	v_mul_f32_e32 v2, 0.5, v15
	v_addc_co_u32_e32 v1, vcc, v3, v1, vcc
	v_add_u32_e32 v4, s33, v4
	global_store_dword v[0:1], v2, off
	v_lshlrev_b64 v[0:1], 2, v[4:5]
	v_add_co_u32_e32 v0, vcc, s24, v0
	v_mul_f32_e32 v2, 0.5, v16
	v_addc_co_u32_e32 v1, vcc, v3, v1, vcc
	v_add_u32_e32 v4, s33, v4
	global_store_dword v[0:1], v2, off
	v_lshlrev_b64 v[0:1], 2, v[4:5]
	v_add_co_u32_e32 v0, vcc, s24, v0
	v_mul_f32_e32 v2, 0.5, v17
	v_addc_co_u32_e32 v1, vcc, v3, v1, vcc
	v_add_u32_e32 v4, s33, v4
	global_store_dword v[0:1], v2, off
	v_lshlrev_b64 v[0:1], 2, v[4:5]
	v_add_co_u32_e32 v0, vcc, s24, v0
	v_mul_f32_e32 v2, 0.5, v79
	v_addc_co_u32_e32 v1, vcc, v3, v1, vcc
	v_add_u32_e32 v4, s33, v4
	global_store_dword v[0:1], v2, off
	v_lshlrev_b64 v[0:1], 2, v[4:5]
	v_add_co_u32_e32 v0, vcc, s24, v0
	v_mul_f32_e32 v2, 0.5, v77
	v_addc_co_u32_e32 v1, vcc, v3, v1, vcc
	global_store_dword v[0:1], v2, off
.LBB3_32:
	s_endpgm
	.section	.rodata,"a",@progbits
	.p2align	6, 0x0
	.amdhsa_kernel _ZL11fasten_mainILm8EEviiPK4AtomS2_PKfS4_S4_S4_S4_S4_PfPK8FFParamsi
		.amdhsa_group_segment_fixed_size 0
		.amdhsa_private_segment_fixed_size 544
		.amdhsa_kernarg_size 352
		.amdhsa_user_sgpr_count 8
		.amdhsa_user_sgpr_private_segment_buffer 1
		.amdhsa_user_sgpr_dispatch_ptr 0
		.amdhsa_user_sgpr_queue_ptr 0
		.amdhsa_user_sgpr_kernarg_segment_ptr 1
		.amdhsa_user_sgpr_dispatch_id 0
		.amdhsa_user_sgpr_flat_scratch_init 1
		.amdhsa_user_sgpr_kernarg_preload_length 0
		.amdhsa_user_sgpr_kernarg_preload_offset 0
		.amdhsa_user_sgpr_private_segment_size 0
		.amdhsa_uses_dynamic_stack 0
		.amdhsa_system_sgpr_private_segment_wavefront_offset 1
		.amdhsa_system_sgpr_workgroup_id_x 1
		.amdhsa_system_sgpr_workgroup_id_y 0
		.amdhsa_system_sgpr_workgroup_id_z 0
		.amdhsa_system_sgpr_workgroup_info 0
		.amdhsa_system_vgpr_workitem_id 0
		.amdhsa_next_free_vgpr 128
		.amdhsa_next_free_sgpr 52
		.amdhsa_accum_offset 128
		.amdhsa_reserve_vcc 1
		.amdhsa_reserve_flat_scratch 0
		.amdhsa_float_round_mode_32 0
		.amdhsa_float_round_mode_16_64 0
		.amdhsa_float_denorm_mode_32 3
		.amdhsa_float_denorm_mode_16_64 3
		.amdhsa_dx10_clamp 1
		.amdhsa_ieee_mode 1
		.amdhsa_fp16_overflow 0
		.amdhsa_tg_split 0
		.amdhsa_exception_fp_ieee_invalid_op 0
		.amdhsa_exception_fp_denorm_src 0
		.amdhsa_exception_fp_ieee_div_zero 0
		.amdhsa_exception_fp_ieee_overflow 0
		.amdhsa_exception_fp_ieee_underflow 0
		.amdhsa_exception_fp_ieee_inexact 0
		.amdhsa_exception_int_div_zero 0
	.end_amdhsa_kernel
	.section	.text._ZL11fasten_mainILm8EEviiPK4AtomS2_PKfS4_S4_S4_S4_S4_PfPK8FFParamsi,"axG",@progbits,_ZL11fasten_mainILm8EEviiPK4AtomS2_PKfS4_S4_S4_S4_S4_PfPK8FFParamsi,comdat
.Lfunc_end3:
	.size	_ZL11fasten_mainILm8EEviiPK4AtomS2_PKfS4_S4_S4_S4_S4_PfPK8FFParamsi, .Lfunc_end3-_ZL11fasten_mainILm8EEviiPK4AtomS2_PKfS4_S4_S4_S4_S4_PfPK8FFParamsi
                                        ; -- End function
	.section	.AMDGPU.csdata,"",@progbits
; Kernel info:
; codeLenInByte = 9852
; NumSgprs: 56
; NumVgprs: 128
; NumAgprs: 0
; TotalNumVgprs: 128
; ScratchSize: 544
; MemoryBound: 0
; FloatMode: 240
; IeeeMode: 1
; LDSByteSize: 0 bytes/workgroup (compile time only)
; SGPRBlocks: 6
; VGPRBlocks: 15
; NumSGPRsForWavesPerEU: 56
; NumVGPRsForWavesPerEU: 128
; AccumOffset: 128
; Occupancy: 4
; WaveLimiterHint : 1
; COMPUTE_PGM_RSRC2:SCRATCH_EN: 1
; COMPUTE_PGM_RSRC2:USER_SGPR: 8
; COMPUTE_PGM_RSRC2:TRAP_HANDLER: 0
; COMPUTE_PGM_RSRC2:TGID_X_EN: 1
; COMPUTE_PGM_RSRC2:TGID_Y_EN: 0
; COMPUTE_PGM_RSRC2:TGID_Z_EN: 0
; COMPUTE_PGM_RSRC2:TIDIG_COMP_CNT: 0
; COMPUTE_PGM_RSRC3_GFX90A:ACCUM_OFFSET: 31
; COMPUTE_PGM_RSRC3_GFX90A:TG_SPLIT: 0
	.section	.text._ZL11fasten_mainILm16EEviiPK4AtomS2_PKfS4_S4_S4_S4_S4_PfPK8FFParamsi,"axG",@progbits,_ZL11fasten_mainILm16EEviiPK4AtomS2_PKfS4_S4_S4_S4_S4_PfPK8FFParamsi,comdat
	.globl	_ZL11fasten_mainILm16EEviiPK4AtomS2_PKfS4_S4_S4_S4_S4_PfPK8FFParamsi ; -- Begin function _ZL11fasten_mainILm16EEviiPK4AtomS2_PKfS4_S4_S4_S4_S4_PfPK8FFParamsi
	.p2align	8
	.type	_ZL11fasten_mainILm16EEviiPK4AtomS2_PKfS4_S4_S4_S4_S4_PfPK8FFParamsi,@function
_ZL11fasten_mainILm16EEviiPK4AtomS2_PKfS4_S4_S4_S4_S4_PfPK8FFParamsi: ; @_ZL11fasten_mainILm16EEviiPK4AtomS2_PKfS4_S4_S4_S4_S4_PfPK8FFParamsi
; %bb.0:
	s_load_dword s6, s[4:5], 0x6c
	s_load_dword s7, s[4:5], 0x58
	s_load_dwordx16 s[36:51], s[4:5], 0x8
	s_add_u32 s0, s0, s9
	s_addc_u32 s1, s1, 0
	s_waitcnt lgkmcnt(0)
	s_and_b32 s33, s6, 0xffff
	s_mul_i32 s8, s8, s33
	v_lshl_add_u32 v4, s8, 4, v0
	s_add_i32 s6, s7, -16
	v_mov_b32_e32 v0, s6
	v_cmp_gt_i32_e64 s[16:17], s7, v4
	v_cndmask_b32_e64 v0, v0, v4, s[16:17]
	v_ashrrev_i32_e32 v1, 31, v0
	v_mov_b32_e32 v2, v4
	v_lshlrev_b64 v[16:17], 2, v[0:1]
	s_lshl_b32 s20, s33, 2
	s_mov_b32 s21, 0
	v_mov_b32_e32 v24, 0
	s_mov_b64 s[12:13], 0
	v_mov_b32_e32 v25, s41
	s_brev_b32 s22, 18
	s_mov_b32 s23, 0xfe5163ab
	s_mov_b32 s24, 0x3c439041
	;; [unrolled: 1-line block ×10, first 2 shown]
	v_mov_b32_e32 v26, 0xbe2aaa9d
	v_mov_b32_e32 v27, 0x3d2aabf7
	;; [unrolled: 1-line block ×3, first 2 shown]
	s_movk_i32 s35, 0x1f8
	v_mov_b32_e32 v19, 0
	v_not_b32_e32 v29, 63
	v_not_b32_e32 v30, 31
	v_mov_b32_e32 v31, 0x7fc00000
	buffer_store_dword v2, off, s[0:3], 0 offset:1420 ; 4-byte Folded Spill
	s_nop 0
	buffer_store_dword v3, off, s[0:3], 0 offset:1424 ; 4-byte Folded Spill
                                        ; implicit-def: $vgpr0
	s_branch .LBB4_2
.LBB4_1:                                ;   in Loop: Header=BB4_2 Depth=1
	s_or_b64 exec, exec, s[6:7]
	v_mul_f32_e32 v45, v44, v44
	v_mov_b32_e32 v46, 0x3c0881c4
	v_fmac_f32_e32 v46, 0xb94c1982, v45
	v_fma_f32 v46, v45, v46, v26
	v_mul_f32_e32 v46, v45, v46
	v_fmac_f32_e32 v44, v44, v46
	v_mov_b32_e32 v46, 0xbab64f3b
	v_fmac_f32_e32 v46, 0x37d75334, v45
	v_fma_f32 v46, v45, v46, v27
	v_fma_f32 v46, v45, v46, v28
	v_fma_f32 v45, v45, v46, 1.0
	v_and_b32_e32 v46, 1, v43
	v_lshlrev_b32_e32 v43, 30, v43
	v_cmp_eq_u32_e32 vcc, 0, v46
	v_and_b32_e32 v43, 0x80000000, v43
	v_xor_b32_e32 v41, v41, v20
	v_cndmask_b32_e32 v44, v45, v44, vcc
	v_xor_b32_e32 v41, v41, v43
	v_xor_b32_e32 v41, v41, v44
	v_cmp_class_f32_e64 vcc, v20, s35
	v_cndmask_b32_e32 v20, v31, v41, vcc
	v_mul_f32_e32 v41, v40, v40
	v_mov_b32_e32 v43, 0x3c0881c4
	v_fmac_f32_e32 v43, 0xb94c1982, v41
	v_fma_f32 v43, v41, v43, v26
	v_mul_f32_e32 v43, v41, v43
	v_fmac_f32_e32 v40, v40, v43
	v_mov_b32_e32 v43, 0xbab64f3b
	v_fmac_f32_e32 v43, 0x37d75334, v41
	v_fma_f32 v43, v41, v43, v27
	v_fma_f32 v43, v41, v43, v28
	v_fma_f32 v41, v41, v43, 1.0
	v_and_b32_e32 v43, 1, v22
	v_cmp_eq_u32_e64 s[6:7], 0, v43
	v_lshlrev_b32_e32 v22, 30, v22
	v_cndmask_b32_e64 v40, -v40, v41, s[6:7]
	v_and_b32_e32 v22, 0x80000000, v22
	v_xor_b32_e32 v22, v22, v40
	v_mul_f32_e32 v40, v39, v39
	v_mov_b32_e32 v41, 0x3c0881c4
	v_fmac_f32_e32 v41, 0xb94c1982, v40
	v_fma_f32 v41, v40, v41, v26
	v_mul_f32_e32 v41, v40, v41
	v_fmac_f32_e32 v39, v39, v41
	v_mov_b32_e32 v41, 0xbab64f3b
	v_fmac_f32_e32 v41, 0x37d75334, v40
	v_fma_f32 v41, v40, v41, v27
	v_fma_f32 v41, v40, v41, v28
	v_fma_f32 v40, v40, v41, 1.0
	v_and_b32_e32 v41, 1, v38
	v_lshlrev_b32_e32 v38, 30, v38
	v_cmp_class_f32_e64 s[6:7], v36, s35
	v_cmp_eq_u32_e64 s[8:9], 0, v41
	v_and_b32_e32 v38, 0x80000000, v38
	v_xor_b32_e32 v36, v37, v36
	v_cndmask_b32_e64 v39, v40, v39, s[8:9]
	v_xor_b32_e32 v36, v36, v38
	v_xor_b32_e32 v36, v36, v39
	v_cndmask_b32_e64 v22, v31, v22, s[6:7]
	v_cndmask_b32_e64 v40, v31, v36, s[6:7]
	v_mov_b32_e32 v37, s47
	v_add_co_u32_e64 v36, s[6:7], s46, v16
	v_addc_co_u32_e64 v37, s[6:7], v37, v17, s[6:7]
	v_mul_f32_e32 v38, v35, v35
	global_load_dword v41, v[36:37], off
	v_mov_b32_e32 v36, 0x3c0881c4
	v_fmac_f32_e32 v36, 0xb94c1982, v38
	v_fma_f32 v36, v38, v36, v26
	v_mul_f32_e32 v39, v38, v36
	v_mov_b32_e32 v37, s49
	v_add_co_u32_e64 v36, s[6:7], s48, v16
	v_addc_co_u32_e64 v37, s[6:7], v37, v17, s[6:7]
	global_load_dword v43, v[36:37], off
	v_mov_b32_e32 v37, s51
	v_add_co_u32_e64 v36, s[6:7], s50, v16
	v_addc_co_u32_e64 v37, s[6:7], v37, v17, s[6:7]
	global_load_dword v44, v[36:37], off
	v_mov_b32_e32 v36, 0xbab64f3b
	v_fmac_f32_e32 v36, 0x37d75334, v38
	v_fma_f32 v36, v38, v36, v27
	v_fma_f32 v36, v38, v36, v28
	v_and_b32_e32 v37, 1, v34
	v_fmac_f32_e32 v35, v35, v39
	v_fma_f32 v36, v38, v36, 1.0
	v_cmp_eq_u32_e64 s[6:7], 0, v37
	v_lshlrev_b32_e32 v34, 30, v34
	v_cndmask_b32_e64 v35, -v35, v36, s[6:7]
	v_and_b32_e32 v34, 0x80000000, v34
	v_xor_b32_e32 v34, v34, v35
	v_cmp_class_f32_e64 s[6:7], v21, s35
	v_cndmask_b32_e64 v35, v31, v34, s[6:7]
	v_mul_f32_e32 v34, v33, v33
	v_mov_b32_e32 v36, 0x3c0881c4
	v_fmac_f32_e32 v36, 0xb94c1982, v34
	v_fma_f32 v36, v34, v36, v26
	v_mul_f32_e32 v36, v34, v36
	v_fmac_f32_e32 v33, v33, v36
	v_mov_b32_e32 v36, 0xbab64f3b
	v_fmac_f32_e32 v36, 0x37d75334, v34
	v_fma_f32 v36, v34, v36, v27
	v_fma_f32 v36, v34, v36, v28
	v_fma_f32 v34, v34, v36, 1.0
	v_and_b32_e32 v36, 1, v32
	v_lshlrev_b32_e32 v32, 30, v32
	v_cmp_eq_u32_e64 s[8:9], 0, v36
	v_and_b32_e32 v32, 0x80000000, v32
	v_xor_b32_e32 v21, v23, v21
	v_cndmask_b32_e64 v33, v34, v33, s[8:9]
	v_xor_b32_e32 v21, v21, v32
	v_xor_b32_e32 v21, v21, v33
	v_cndmask_b32_e64 v34, v31, v21, s[6:7]
	v_mul_f32_e32 v21, v42, v42
	v_mov_b32_e32 v23, 0x3c0881c4
	v_fmac_f32_e32 v23, 0xb94c1982, v21
	v_fma_f32 v23, v21, v23, v26
	v_mul_f32_e32 v23, v21, v23
	v_fmac_f32_e32 v42, v42, v23
	v_mov_b32_e32 v23, 0xbab64f3b
	v_fmac_f32_e32 v23, 0x37d75334, v21
	v_fma_f32 v23, v21, v23, v27
	v_fma_f32 v23, v21, v23, v28
	v_fma_f32 v21, v21, v23, 1.0
	v_and_b32_e32 v23, 1, v18
	v_cmp_eq_u32_e64 s[6:7], 0, v23
	v_lshlrev_b32_e32 v18, 30, v18
	v_cndmask_b32_e64 v21, -v42, v21, s[6:7]
	v_and_b32_e32 v18, 0x80000000, v18
	v_xor_b32_e32 v18, v18, v21
	v_cndmask_b32_e32 v32, v31, v18, vcc
	v_mul_f32_e32 v18, v34, v40
	v_mul_f32_e32 v23, v18, v32
	;; [unrolled: 1-line block ×3, first 2 shown]
	v_pk_mul_f32 v[36:37], v[22:23], v[32:33]
	v_pk_add_f32 v[38:39], v[22:23], v[32:33] neg_lo:[0,1] neg_hi:[0,1]
	v_mul_f32_e32 v33, v35, v40
	v_mul_f32_e32 v21, v33, v32
	v_fmac_f32_e32 v21, v34, v20
	buffer_store_dword v36, v24, s[0:3], 0 offen
	buffer_store_dword v39, v24, s[0:3], 0 offen offset:4
	buffer_store_dword v21, v24, s[0:3], 0 offen offset:8
	s_waitcnt vmcnt(5)
	buffer_store_dword v41, v24, s[0:3], 0 offen offset:12
	v_mul_f32_e32 v23, v18, v20
	v_mul_f32_e32 v21, v35, v32
	;; [unrolled: 1-line block ×3, first 2 shown]
	v_pk_mul_f32 v[36:37], v[22:23], v[20:21]
	v_fma_f32 v18, v33, v20, -v18
	v_pk_add_f32 v[38:39], v[22:23], v[20:21]
	buffer_store_dword v36, v24, s[0:3], 0 offen offset:16
	buffer_store_dword v39, v24, s[0:3], 0 offen offset:20
	;; [unrolled: 1-line block ×3, first 2 shown]
	s_waitcnt vmcnt(8)
	buffer_store_dword v43, v24, s[0:3], 0 offen offset:28
	v_xor_b32_e32 v18, 0x80000000, v40
	v_pk_mul_f32 v[20:21], v[34:35], v[22:23] op_sel_hi:[1,0]
	buffer_store_dword v18, v24, s[0:3], 0 offen offset:32
	buffer_store_dword v21, v24, s[0:3], 0 offen offset:40
	buffer_store_dword v20, v24, s[0:3], 0 offen offset:36
	s_waitcnt vmcnt(11)
	buffer_store_dword v44, v24, s[0:3], 0 offen offset:44
	s_set_gpr_idx_on s12, gpr_idx(DST)
	v_mov_b32_e32 v0, 0
	s_set_gpr_idx_off
	s_add_u32 s12, s12, 1
	s_addc_u32 s13, s13, 0
	v_mov_b32_e32 v18, s21
	v_add_co_u32_e32 v16, vcc, s20, v16
	v_addc_co_u32_e32 v17, vcc, v17, v18, vcc
	s_cmp_lg_u32 s12, 16
	v_add_u32_e32 v24, 48, v24
	s_cbranch_scc0 .LBB4_26
.LBB4_2:                                ; =>This Inner Loop Header: Depth=1
	v_add_co_u32_e32 v20, vcc, s40, v16
	v_addc_co_u32_e32 v21, vcc, v25, v17, vcc
	global_load_dword v21, v[20:21], off
                                        ; implicit-def: $vgpr32
                                        ; implicit-def: $vgpr33
	s_waitcnt vmcnt(0)
	v_and_b32_e32 v23, 0x7fffffff, v21
	v_lshrrev_b32_e32 v18, 23, v23
	v_and_b32_e32 v20, 0x7fffff, v23
	v_cmp_nlt_f32_e64 s[14:15], |v21|, s22
	v_add_u32_e32 v22, 0xffffff88, v18
	v_or_b32_e32 v20, 0x800000, v20
	s_and_saveexec_b64 s[6:7], s[14:15]
	s_xor_b64 s[18:19], exec, s[6:7]
	s_cbranch_execz .LBB4_4
; %bb.3:                                ;   in Loop: Header=BB4_2 Depth=1
	v_cmp_lt_u32_e32 vcc, 63, v22
	v_cndmask_b32_e32 v18, 0, v29, vcc
	v_add_u32_e32 v18, v18, v22
	v_cmp_lt_u32_e64 s[6:7], 31, v18
	v_cndmask_b32_e64 v32, 0, v30, s[6:7]
	v_add_u32_e32 v18, v32, v18
	v_cmp_lt_u32_e64 s[8:9], 31, v18
	v_cndmask_b32_e64 v32, 0, v30, s[8:9]
	v_add_u32_e32 v46, v32, v18
	v_mad_u64_u32 v[32:33], s[10:11], v20, s23, 0
	v_mov_b32_e32 v18, v33
	v_mad_u64_u32 v[34:35], s[10:11], v20, s24, v[18:19]
	v_mov_b32_e32 v18, v35
	;; [unrolled: 2-line block ×6, first 2 shown]
	v_mad_u64_u32 v[44:45], s[10:11], v20, s29, v[18:19]
	v_cndmask_b32_e32 v33, v42, v38, vcc
	v_cndmask_b32_e32 v18, v44, v40, vcc
	v_cndmask_b32_e32 v37, v45, v42, vcc
	v_cndmask_b32_e64 v35, v18, v33, s[6:7]
	v_cndmask_b32_e64 v18, v37, v18, s[6:7]
	v_cndmask_b32_e32 v37, v40, v36, vcc
	v_cndmask_b32_e64 v33, v33, v37, s[6:7]
	v_cndmask_b32_e32 v34, v38, v34, vcc
	v_cndmask_b32_e64 v18, v18, v35, s[8:9]
	v_cndmask_b32_e64 v35, v35, v33, s[8:9]
	v_sub_u32_e32 v39, 32, v46
	v_cndmask_b32_e64 v37, v37, v34, s[6:7]
	v_alignbit_b32 v40, v18, v35, v39
	v_cmp_eq_u32_e64 s[10:11], 0, v46
	v_cndmask_b32_e64 v33, v33, v37, s[8:9]
	v_cndmask_b32_e32 v32, v36, v32, vcc
	v_cndmask_b32_e64 v18, v40, v18, s[10:11]
	v_alignbit_b32 v38, v35, v33, v39
	v_cndmask_b32_e64 v32, v34, v32, s[6:7]
	v_cndmask_b32_e64 v35, v38, v35, s[10:11]
	v_bfe_u32 v41, v18, 29, 1
	v_cndmask_b32_e64 v32, v37, v32, s[8:9]
	v_alignbit_b32 v38, v18, v35, 30
	v_sub_u32_e32 v42, 0, v41
	v_alignbit_b32 v34, v33, v32, v39
	v_xor_b32_e32 v43, v38, v42
	v_cndmask_b32_e64 v33, v34, v33, s[10:11]
	v_alignbit_b32 v34, v35, v33, 30
	v_ffbh_u32_e32 v35, v43
	v_add_u32_e32 v35, 1, v35
	v_cmp_ne_u32_e32 vcc, v38, v42
	v_cndmask_b32_e32 v35, 33, v35, vcc
	v_alignbit_b32 v32, v33, v32, 30
	v_xor_b32_e32 v34, v34, v42
	v_sub_u32_e32 v36, 32, v35
	v_xor_b32_e32 v32, v32, v42
	v_alignbit_b32 v37, v43, v34, v36
	v_alignbit_b32 v32, v34, v32, v36
	;; [unrolled: 1-line block ×3, first 2 shown]
	v_ffbh_u32_e32 v34, v33
	v_min_u32_e32 v34, 32, v34
	v_lshrrev_b32_e32 v40, 29, v18
	v_sub_u32_e32 v36, 31, v34
	v_alignbit_b32 v32, v33, v32, v36
	v_lshlrev_b32_e32 v33, 31, v40
	v_or_b32_e32 v36, 0x33800000, v33
	v_add_lshl_u32 v34, v34, v35, 23
	v_lshrrev_b32_e32 v32, 9, v32
	v_sub_u32_e32 v34, v36, v34
	v_or_b32_e32 v32, v34, v32
	v_alignbit_b32 v34, v35, v37, 9
	v_or_b32_e32 v33, v34, v33
	v_xor_b32_e32 v33, 1.0, v33
	v_mul_f32_e32 v34, 0x3fc90fda, v33
	v_fma_f32 v35, v33, s30, -v34
	v_fmac_f32_e32 v35, 0x33a22168, v33
	v_fmac_f32_e32 v35, 0x3fc90fda, v32
	v_lshrrev_b32_e32 v18, 30, v18
	v_add_f32_e32 v33, v34, v35
	v_add_u32_e32 v32, v41, v18
.LBB4_4:                                ;   in Loop: Header=BB4_2 Depth=1
	s_or_saveexec_b64 s[6:7], s[18:19]
	v_mul_f32_e64 v18, |v21|, s31
	v_rndne_f32_e32 v18, v18
	s_xor_b64 exec, exec, s[6:7]
; %bb.5:                                ;   in Loop: Header=BB4_2 Depth=1
	v_cvt_i32_f32_e32 v32, v18
	v_fma_f32 v33, v18, s34, |v21|
	v_fmac_f32_e32 v33, 0xb3a22168, v18
	v_fmac_f32_e32 v33, 0xa7c234c4, v18
; %bb.6:                                ;   in Loop: Header=BB4_2 Depth=1
	s_or_b64 exec, exec, s[6:7]
                                        ; implicit-def: $vgpr34
                                        ; implicit-def: $vgpr35
	s_and_saveexec_b64 s[6:7], s[14:15]
	s_xor_b64 s[14:15], exec, s[6:7]
	s_cbranch_execz .LBB4_8
; %bb.7:                                ;   in Loop: Header=BB4_2 Depth=1
	v_cmp_lt_u32_e32 vcc, 63, v22
	v_cndmask_b32_e32 v18, 0, v29, vcc
	v_add_u32_e32 v18, v18, v22
	v_cmp_lt_u32_e64 s[6:7], 31, v18
	v_cndmask_b32_e64 v22, 0, v30, s[6:7]
	v_add_u32_e32 v18, v22, v18
	v_cmp_lt_u32_e64 s[8:9], 31, v18
	v_cndmask_b32_e64 v22, 0, v30, s[8:9]
	v_mad_u64_u32 v[34:35], s[10:11], v20, s23, 0
	v_add_u32_e32 v22, v22, v18
	v_mov_b32_e32 v18, v35
	v_mad_u64_u32 v[36:37], s[10:11], v20, s24, v[18:19]
	v_mov_b32_e32 v18, v37
	v_mad_u64_u32 v[38:39], s[10:11], v20, s25, v[18:19]
	;; [unrolled: 2-line block ×6, first 2 shown]
	v_cndmask_b32_e32 v35, v44, v40, vcc
	v_cndmask_b32_e32 v18, v46, v42, vcc
	;; [unrolled: 1-line block ×3, first 2 shown]
	v_cndmask_b32_e64 v20, v18, v35, s[6:7]
	v_cndmask_b32_e64 v18, v37, v18, s[6:7]
	v_cndmask_b32_e32 v37, v42, v38, vcc
	v_cndmask_b32_e64 v35, v35, v37, s[6:7]
	v_sub_u32_e32 v39, 32, v22
	v_cmp_eq_u32_e64 s[10:11], 0, v22
	v_cndmask_b32_e32 v22, v40, v36, vcc
	v_cndmask_b32_e64 v18, v18, v20, s[8:9]
	v_cndmask_b32_e64 v20, v20, v35, s[8:9]
	;; [unrolled: 1-line block ×3, first 2 shown]
	v_alignbit_b32 v41, v18, v20, v39
	v_cndmask_b32_e64 v35, v35, v36, s[8:9]
	v_cndmask_b32_e64 v18, v41, v18, s[10:11]
	v_alignbit_b32 v37, v20, v35, v39
	v_cndmask_b32_e32 v34, v38, v34, vcc
	v_cndmask_b32_e64 v20, v37, v20, s[10:11]
	v_bfe_u32 v41, v18, 29, 1
	v_cndmask_b32_e64 v22, v22, v34, s[6:7]
	v_alignbit_b32 v37, v18, v20, 30
	v_sub_u32_e32 v42, 0, v41
	v_cndmask_b32_e64 v22, v36, v22, s[8:9]
	v_xor_b32_e32 v43, v37, v42
	v_alignbit_b32 v34, v35, v22, v39
	v_cndmask_b32_e64 v34, v34, v35, s[10:11]
	v_ffbh_u32_e32 v35, v43
	v_add_u32_e32 v35, 1, v35
	v_cmp_ne_u32_e32 vcc, v37, v42
	v_alignbit_b32 v20, v20, v34, 30
	v_cndmask_b32_e32 v35, 33, v35, vcc
	v_alignbit_b32 v22, v34, v22, 30
	v_xor_b32_e32 v20, v20, v42
	v_sub_u32_e32 v36, 32, v35
	v_xor_b32_e32 v22, v22, v42
	v_alignbit_b32 v37, v43, v20, v36
	v_alignbit_b32 v20, v20, v22, v36
	;; [unrolled: 1-line block ×3, first 2 shown]
	v_ffbh_u32_e32 v34, v22
	v_min_u32_e32 v34, 32, v34
	v_lshrrev_b32_e32 v40, 29, v18
	v_sub_u32_e32 v36, 31, v34
	v_alignbit_b32 v20, v22, v20, v36
	v_lshlrev_b32_e32 v22, 31, v40
	v_or_b32_e32 v36, 0x33800000, v22
	v_add_lshl_u32 v34, v34, v35, 23
	v_lshrrev_b32_e32 v20, 9, v20
	v_sub_u32_e32 v34, v36, v34
	v_or_b32_e32 v20, v34, v20
	v_alignbit_b32 v34, v35, v37, 9
	v_or_b32_e32 v22, v34, v22
	v_xor_b32_e32 v22, 1.0, v22
	v_mul_f32_e32 v34, 0x3fc90fda, v22
	v_fma_f32 v35, v22, s30, -v34
	v_fmac_f32_e32 v35, 0x33a22168, v22
	v_fmac_f32_e32 v35, 0x3fc90fda, v20
	v_lshrrev_b32_e32 v18, 30, v18
	v_add_f32_e32 v35, v34, v35
	v_add_u32_e32 v34, v41, v18
                                        ; implicit-def: $vgpr18
	s_andn2_saveexec_b64 s[6:7], s[14:15]
	s_cbranch_execnz .LBB4_9
	s_branch .LBB4_10
.LBB4_8:                                ;   in Loop: Header=BB4_2 Depth=1
	s_andn2_saveexec_b64 s[6:7], s[14:15]
.LBB4_9:                                ;   in Loop: Header=BB4_2 Depth=1
	v_cvt_i32_f32_e32 v34, v18
	v_fma_f32 v35, v18, s34, |v21|
	v_fmac_f32_e32 v35, 0xb3a22168, v18
	v_fmac_f32_e32 v35, 0xa7c234c4, v18
.LBB4_10:                               ;   in Loop: Header=BB4_2 Depth=1
	s_or_b64 exec, exec, s[6:7]
	v_mov_b32_e32 v18, s43
	v_add_co_u32_e32 v36, vcc, s42, v16
	v_addc_co_u32_e32 v37, vcc, v18, v17, vcc
	global_load_dword v36, v[36:37], off
                                        ; implicit-def: $vgpr38
                                        ; implicit-def: $vgpr39
	s_waitcnt vmcnt(0)
	v_and_b32_e32 v37, 0x7fffffff, v36
	v_lshrrev_b32_e32 v18, 23, v37
	v_and_b32_e32 v20, 0x7fffff, v37
	v_cmp_nlt_f32_e64 s[14:15], |v36|, s22
	v_add_u32_e32 v41, 0xffffff88, v18
	v_or_b32_e32 v20, 0x800000, v20
	s_and_saveexec_b64 s[6:7], s[14:15]
	s_xor_b64 s[18:19], exec, s[6:7]
	s_cbranch_execz .LBB4_12
; %bb.11:                               ;   in Loop: Header=BB4_2 Depth=1
	v_cmp_lt_u32_e32 vcc, 63, v41
	v_cndmask_b32_e32 v18, 0, v29, vcc
	v_add_u32_e32 v18, v18, v41
	v_cmp_lt_u32_e64 s[6:7], 31, v18
	v_cndmask_b32_e64 v22, 0, v30, s[6:7]
	v_add_u32_e32 v18, v22, v18
	v_cmp_lt_u32_e64 s[8:9], 31, v18
	v_cndmask_b32_e64 v22, 0, v30, s[8:9]
	v_mad_u64_u32 v[38:39], s[10:11], v20, s23, 0
	v_add_u32_e32 v22, v22, v18
	v_mov_b32_e32 v18, v39
	v_mad_u64_u32 v[42:43], s[10:11], v20, s24, v[18:19]
	v_mov_b32_e32 v18, v43
	v_mad_u64_u32 v[44:45], s[10:11], v20, s25, v[18:19]
	;; [unrolled: 2-line block ×6, first 2 shown]
	v_cndmask_b32_e32 v39, v50, v46, vcc
	v_cndmask_b32_e32 v18, v52, v48, vcc
	;; [unrolled: 1-line block ×3, first 2 shown]
	v_cndmask_b32_e64 v40, v18, v39, s[6:7]
	v_cndmask_b32_e64 v18, v43, v18, s[6:7]
	v_cndmask_b32_e32 v43, v48, v44, vcc
	v_cndmask_b32_e64 v39, v39, v43, s[6:7]
	v_sub_u32_e32 v45, 32, v22
	v_cmp_eq_u32_e64 s[10:11], 0, v22
	v_cndmask_b32_e32 v22, v46, v42, vcc
	v_cndmask_b32_e64 v18, v18, v40, s[8:9]
	v_cndmask_b32_e64 v40, v40, v39, s[8:9]
	;; [unrolled: 1-line block ×3, first 2 shown]
	v_alignbit_b32 v47, v18, v40, v45
	v_cndmask_b32_e64 v39, v39, v42, s[8:9]
	v_cndmask_b32_e32 v38, v44, v38, vcc
	v_cndmask_b32_e64 v18, v47, v18, s[10:11]
	v_alignbit_b32 v43, v40, v39, v45
	v_cndmask_b32_e64 v22, v22, v38, s[6:7]
	v_cndmask_b32_e64 v40, v43, v40, s[10:11]
	v_bfe_u32 v47, v18, 29, 1
	v_cndmask_b32_e64 v22, v42, v22, s[8:9]
	v_alignbit_b32 v43, v18, v40, 30
	v_sub_u32_e32 v48, 0, v47
	v_alignbit_b32 v38, v39, v22, v45
	v_xor_b32_e32 v49, v43, v48
	v_cndmask_b32_e64 v38, v38, v39, s[10:11]
	v_alignbit_b32 v39, v40, v38, 30
	v_ffbh_u32_e32 v40, v49
	v_add_u32_e32 v40, 1, v40
	v_cmp_ne_u32_e32 vcc, v43, v48
	v_cndmask_b32_e32 v40, 33, v40, vcc
	v_alignbit_b32 v22, v38, v22, 30
	v_xor_b32_e32 v39, v39, v48
	v_sub_u32_e32 v42, 32, v40
	v_xor_b32_e32 v22, v22, v48
	v_alignbit_b32 v43, v49, v39, v42
	v_alignbit_b32 v22, v39, v22, v42
	;; [unrolled: 1-line block ×3, first 2 shown]
	v_ffbh_u32_e32 v39, v38
	v_min_u32_e32 v39, 32, v39
	v_lshrrev_b32_e32 v46, 29, v18
	v_sub_u32_e32 v42, 31, v39
	v_alignbit_b32 v22, v38, v22, v42
	v_lshlrev_b32_e32 v38, 31, v46
	v_or_b32_e32 v42, 0x33800000, v38
	v_add_lshl_u32 v39, v39, v40, 23
	v_lshrrev_b32_e32 v22, 9, v22
	v_sub_u32_e32 v39, v42, v39
	v_or_b32_e32 v22, v39, v22
	v_alignbit_b32 v39, v40, v43, 9
	v_or_b32_e32 v38, v39, v38
	v_xor_b32_e32 v38, 1.0, v38
	v_mul_f32_e32 v39, 0x3fc90fda, v38
	v_fma_f32 v40, v38, s30, -v39
	v_fmac_f32_e32 v40, 0x33a22168, v38
	v_fmac_f32_e32 v40, 0x3fc90fda, v22
	v_lshrrev_b32_e32 v18, 30, v18
	v_add_f32_e32 v39, v39, v40
	v_add_u32_e32 v38, v47, v18
.LBB4_12:                               ;   in Loop: Header=BB4_2 Depth=1
	s_or_saveexec_b64 s[6:7], s[18:19]
	v_mul_f32_e64 v18, |v36|, s31
	v_rndne_f32_e32 v18, v18
	s_xor_b64 exec, exec, s[6:7]
; %bb.13:                               ;   in Loop: Header=BB4_2 Depth=1
	v_cvt_i32_f32_e32 v38, v18
	v_fma_f32 v39, v18, s34, |v36|
	v_fmac_f32_e32 v39, 0xb3a22168, v18
	v_fmac_f32_e32 v39, 0xa7c234c4, v18
; %bb.14:                               ;   in Loop: Header=BB4_2 Depth=1
	s_or_b64 exec, exec, s[6:7]
                                        ; implicit-def: $vgpr22
                                        ; implicit-def: $vgpr40
	s_and_saveexec_b64 s[6:7], s[14:15]
	s_xor_b64 s[14:15], exec, s[6:7]
	s_cbranch_execz .LBB4_16
; %bb.15:                               ;   in Loop: Header=BB4_2 Depth=1
	v_cmp_lt_u32_e32 vcc, 63, v41
	v_cndmask_b32_e32 v18, 0, v29, vcc
	v_add_u32_e32 v18, v18, v41
	v_cmp_lt_u32_e64 s[6:7], 31, v18
	v_cndmask_b32_e64 v22, 0, v30, s[6:7]
	v_add_u32_e32 v18, v22, v18
	v_cmp_lt_u32_e64 s[8:9], 31, v18
	v_cndmask_b32_e64 v22, 0, v30, s[8:9]
	v_mad_u64_u32 v[40:41], s[10:11], v20, s23, 0
	v_add_u32_e32 v22, v22, v18
	v_mov_b32_e32 v18, v41
	v_mad_u64_u32 v[42:43], s[10:11], v20, s24, v[18:19]
	v_mov_b32_e32 v18, v43
	v_mad_u64_u32 v[44:45], s[10:11], v20, s25, v[18:19]
	;; [unrolled: 2-line block ×6, first 2 shown]
	v_cndmask_b32_e32 v41, v50, v46, vcc
	v_cndmask_b32_e32 v18, v52, v48, vcc
	;; [unrolled: 1-line block ×3, first 2 shown]
	v_cndmask_b32_e64 v20, v18, v41, s[6:7]
	v_cndmask_b32_e64 v18, v43, v18, s[6:7]
	v_cndmask_b32_e32 v43, v48, v44, vcc
	v_cndmask_b32_e64 v41, v41, v43, s[6:7]
	v_sub_u32_e32 v45, 32, v22
	v_cmp_eq_u32_e64 s[10:11], 0, v22
	v_cndmask_b32_e32 v22, v46, v42, vcc
	v_cndmask_b32_e64 v18, v18, v20, s[8:9]
	v_cndmask_b32_e64 v20, v20, v41, s[8:9]
	;; [unrolled: 1-line block ×3, first 2 shown]
	v_alignbit_b32 v47, v18, v20, v45
	v_cndmask_b32_e64 v41, v41, v42, s[8:9]
	v_cndmask_b32_e64 v18, v47, v18, s[10:11]
	v_alignbit_b32 v43, v20, v41, v45
	v_cndmask_b32_e32 v40, v44, v40, vcc
	v_cndmask_b32_e64 v20, v43, v20, s[10:11]
	v_bfe_u32 v47, v18, 29, 1
	v_cndmask_b32_e64 v22, v22, v40, s[6:7]
	v_alignbit_b32 v43, v18, v20, 30
	v_sub_u32_e32 v48, 0, v47
	v_cndmask_b32_e64 v22, v42, v22, s[8:9]
	v_xor_b32_e32 v49, v43, v48
	v_alignbit_b32 v40, v41, v22, v45
	v_cndmask_b32_e64 v40, v40, v41, s[10:11]
	v_ffbh_u32_e32 v41, v49
	v_add_u32_e32 v41, 1, v41
	v_cmp_ne_u32_e32 vcc, v43, v48
	v_alignbit_b32 v20, v20, v40, 30
	v_cndmask_b32_e32 v41, 33, v41, vcc
	v_alignbit_b32 v22, v40, v22, 30
	v_xor_b32_e32 v20, v20, v48
	v_sub_u32_e32 v42, 32, v41
	v_xor_b32_e32 v22, v22, v48
	v_alignbit_b32 v43, v49, v20, v42
	v_alignbit_b32 v20, v20, v22, v42
	;; [unrolled: 1-line block ×3, first 2 shown]
	v_ffbh_u32_e32 v40, v22
	v_min_u32_e32 v40, 32, v40
	v_lshrrev_b32_e32 v46, 29, v18
	v_sub_u32_e32 v42, 31, v40
	v_alignbit_b32 v20, v22, v20, v42
	v_lshlrev_b32_e32 v22, 31, v46
	v_or_b32_e32 v42, 0x33800000, v22
	v_add_lshl_u32 v40, v40, v41, 23
	v_lshrrev_b32_e32 v20, 9, v20
	v_sub_u32_e32 v40, v42, v40
	v_or_b32_e32 v20, v40, v20
	v_alignbit_b32 v40, v41, v43, 9
	v_or_b32_e32 v22, v40, v22
	v_xor_b32_e32 v22, 1.0, v22
	v_mul_f32_e32 v40, 0x3fc90fda, v22
	v_fma_f32 v41, v22, s30, -v40
	v_fmac_f32_e32 v41, 0x33a22168, v22
	v_fmac_f32_e32 v41, 0x3fc90fda, v20
	v_lshrrev_b32_e32 v18, 30, v18
	v_add_f32_e32 v40, v40, v41
	v_add_u32_e32 v22, v47, v18
                                        ; implicit-def: $vgpr18
	s_andn2_saveexec_b64 s[6:7], s[14:15]
	s_cbranch_execnz .LBB4_17
	s_branch .LBB4_18
.LBB4_16:                               ;   in Loop: Header=BB4_2 Depth=1
	s_andn2_saveexec_b64 s[6:7], s[14:15]
.LBB4_17:                               ;   in Loop: Header=BB4_2 Depth=1
	v_cvt_i32_f32_e32 v22, v18
	v_fma_f32 v40, v18, s34, |v36|
	v_fmac_f32_e32 v40, 0xb3a22168, v18
	v_fmac_f32_e32 v40, 0xa7c234c4, v18
.LBB4_18:                               ;   in Loop: Header=BB4_2 Depth=1
	s_or_b64 exec, exec, s[6:7]
	v_mov_b32_e32 v18, s45
	v_add_co_u32_e32 v42, vcc, s44, v16
	v_addc_co_u32_e32 v43, vcc, v18, v17, vcc
	global_load_dword v20, v[42:43], off
                                        ; implicit-def: $vgpr43
                                        ; implicit-def: $vgpr44
	s_waitcnt vmcnt(0)
	v_and_b32_e32 v41, 0x7fffffff, v20
	v_lshrrev_b32_e32 v18, 23, v41
	v_and_b32_e32 v42, 0x7fffff, v41
	v_cmp_nlt_f32_e64 s[14:15], |v20|, s22
	v_add_u32_e32 v46, 0xffffff88, v18
	v_or_b32_e32 v45, 0x800000, v42
	s_and_saveexec_b64 s[6:7], s[14:15]
	s_xor_b64 s[18:19], exec, s[6:7]
	s_cbranch_execz .LBB4_20
; %bb.19:                               ;   in Loop: Header=BB4_2 Depth=1
	v_cmp_lt_u32_e32 vcc, 63, v46
	v_cndmask_b32_e32 v18, 0, v29, vcc
	v_add_u32_e32 v18, v18, v46
	v_cmp_lt_u32_e64 s[6:7], 31, v18
	v_cndmask_b32_e64 v42, 0, v30, s[6:7]
	v_add_u32_e32 v18, v42, v18
	v_cmp_lt_u32_e64 s[8:9], 31, v18
	v_cndmask_b32_e64 v42, 0, v30, s[8:9]
	v_add_u32_e32 v44, v42, v18
	v_mad_u64_u32 v[42:43], s[10:11], v45, s23, 0
	v_mov_b32_e32 v18, v43
	v_mad_u64_u32 v[48:49], s[10:11], v45, s24, v[18:19]
	v_mov_b32_e32 v18, v49
	;; [unrolled: 2-line block ×6, first 2 shown]
	v_mad_u64_u32 v[58:59], s[10:11], v45, s29, v[18:19]
	v_cndmask_b32_e32 v43, v56, v52, vcc
	v_cndmask_b32_e32 v18, v58, v54, vcc
	;; [unrolled: 1-line block ×3, first 2 shown]
	v_cndmask_b32_e64 v47, v18, v43, s[6:7]
	v_cndmask_b32_e64 v18, v49, v18, s[6:7]
	v_cndmask_b32_e32 v49, v54, v50, vcc
	v_cndmask_b32_e64 v43, v43, v49, s[6:7]
	v_sub_u32_e32 v51, 32, v44
	v_cmp_eq_u32_e64 s[10:11], 0, v44
	v_cndmask_b32_e32 v44, v52, v48, vcc
	v_cndmask_b32_e64 v18, v18, v47, s[8:9]
	v_cndmask_b32_e64 v47, v47, v43, s[8:9]
	;; [unrolled: 1-line block ×3, first 2 shown]
	v_alignbit_b32 v53, v18, v47, v51
	v_cndmask_b32_e64 v43, v43, v48, s[8:9]
	v_cndmask_b32_e32 v42, v50, v42, vcc
	v_cndmask_b32_e64 v18, v53, v18, s[10:11]
	v_alignbit_b32 v49, v47, v43, v51
	v_cndmask_b32_e64 v42, v44, v42, s[6:7]
	v_cndmask_b32_e64 v47, v49, v47, s[10:11]
	v_bfe_u32 v53, v18, 29, 1
	v_cndmask_b32_e64 v42, v48, v42, s[8:9]
	v_alignbit_b32 v49, v18, v47, 30
	v_sub_u32_e32 v54, 0, v53
	v_alignbit_b32 v44, v43, v42, v51
	v_xor_b32_e32 v55, v49, v54
	v_cndmask_b32_e64 v43, v44, v43, s[10:11]
	v_alignbit_b32 v44, v47, v43, 30
	v_ffbh_u32_e32 v47, v55
	v_add_u32_e32 v47, 1, v47
	v_cmp_ne_u32_e32 vcc, v49, v54
	v_cndmask_b32_e32 v47, 33, v47, vcc
	v_alignbit_b32 v42, v43, v42, 30
	v_xor_b32_e32 v44, v44, v54
	v_sub_u32_e32 v48, 32, v47
	v_xor_b32_e32 v42, v42, v54
	v_alignbit_b32 v49, v55, v44, v48
	v_alignbit_b32 v42, v44, v42, v48
	;; [unrolled: 1-line block ×3, first 2 shown]
	v_ffbh_u32_e32 v44, v43
	v_min_u32_e32 v44, 32, v44
	v_lshrrev_b32_e32 v52, 29, v18
	v_sub_u32_e32 v48, 31, v44
	v_alignbit_b32 v42, v43, v42, v48
	v_lshlrev_b32_e32 v43, 31, v52
	v_or_b32_e32 v48, 0x33800000, v43
	v_add_lshl_u32 v44, v44, v47, 23
	v_lshrrev_b32_e32 v42, 9, v42
	v_sub_u32_e32 v44, v48, v44
	v_or_b32_e32 v42, v44, v42
	v_alignbit_b32 v44, v47, v49, 9
	v_or_b32_e32 v43, v44, v43
	v_xor_b32_e32 v43, 1.0, v43
	v_mul_f32_e32 v44, 0x3fc90fda, v43
	v_fma_f32 v47, v43, s30, -v44
	v_fmac_f32_e32 v47, 0x33a22168, v43
	v_fmac_f32_e32 v47, 0x3fc90fda, v42
	v_lshrrev_b32_e32 v18, 30, v18
	v_add_f32_e32 v44, v44, v47
	v_add_u32_e32 v43, v53, v18
.LBB4_20:                               ;   in Loop: Header=BB4_2 Depth=1
	s_or_saveexec_b64 s[6:7], s[18:19]
	v_mul_f32_e64 v18, |v20|, s31
	v_rndne_f32_e32 v47, v18
	s_xor_b64 exec, exec, s[6:7]
; %bb.21:                               ;   in Loop: Header=BB4_2 Depth=1
	v_cvt_i32_f32_e32 v43, v47
	v_fma_f32 v44, v47, s34, |v20|
	v_fmac_f32_e32 v44, 0xb3a22168, v47
	v_fmac_f32_e32 v44, 0xa7c234c4, v47
; %bb.22:                               ;   in Loop: Header=BB4_2 Depth=1
	s_or_b64 exec, exec, s[6:7]
                                        ; implicit-def: $vgpr18
                                        ; implicit-def: $vgpr42
	s_and_saveexec_b64 s[6:7], s[14:15]
	s_xor_b64 s[14:15], exec, s[6:7]
	s_cbranch_execz .LBB4_24
; %bb.23:                               ;   in Loop: Header=BB4_2 Depth=1
	v_cmp_lt_u32_e32 vcc, 63, v46
	v_cndmask_b32_e32 v18, 0, v29, vcc
	v_add_u32_e32 v18, v18, v46
	v_cmp_lt_u32_e64 s[6:7], 31, v18
	v_cndmask_b32_e64 v42, 0, v30, s[6:7]
	v_add_u32_e32 v18, v42, v18
	v_cmp_lt_u32_e64 s[8:9], 31, v18
	v_cndmask_b32_e64 v42, 0, v30, s[8:9]
	v_mad_u64_u32 v[46:47], s[10:11], v45, s23, 0
	v_add_u32_e32 v42, v42, v18
	v_mov_b32_e32 v18, v47
	v_mad_u64_u32 v[48:49], s[10:11], v45, s24, v[18:19]
	v_mov_b32_e32 v18, v49
	v_mad_u64_u32 v[50:51], s[10:11], v45, s25, v[18:19]
	;; [unrolled: 2-line block ×6, first 2 shown]
	v_cndmask_b32_e32 v47, v56, v52, vcc
	v_cndmask_b32_e32 v18, v58, v54, vcc
	;; [unrolled: 1-line block ×3, first 2 shown]
	v_cndmask_b32_e64 v45, v18, v47, s[6:7]
	v_cndmask_b32_e64 v18, v49, v18, s[6:7]
	v_cndmask_b32_e32 v49, v54, v50, vcc
	v_cndmask_b32_e64 v47, v47, v49, s[6:7]
	v_sub_u32_e32 v51, 32, v42
	v_cmp_eq_u32_e64 s[10:11], 0, v42
	v_cndmask_b32_e32 v42, v52, v48, vcc
	v_cndmask_b32_e64 v18, v18, v45, s[8:9]
	v_cndmask_b32_e64 v45, v45, v47, s[8:9]
	;; [unrolled: 1-line block ×3, first 2 shown]
	v_alignbit_b32 v53, v18, v45, v51
	v_cndmask_b32_e64 v47, v47, v48, s[8:9]
	v_cndmask_b32_e64 v18, v53, v18, s[10:11]
	v_alignbit_b32 v49, v45, v47, v51
	v_cndmask_b32_e32 v46, v50, v46, vcc
	v_cndmask_b32_e64 v45, v49, v45, s[10:11]
	v_bfe_u32 v53, v18, 29, 1
	v_cndmask_b32_e64 v42, v42, v46, s[6:7]
	v_alignbit_b32 v49, v18, v45, 30
	v_sub_u32_e32 v54, 0, v53
	v_cndmask_b32_e64 v42, v48, v42, s[8:9]
	v_xor_b32_e32 v55, v49, v54
	v_alignbit_b32 v46, v47, v42, v51
	v_cndmask_b32_e64 v46, v46, v47, s[10:11]
	v_ffbh_u32_e32 v47, v55
	v_add_u32_e32 v47, 1, v47
	v_cmp_ne_u32_e32 vcc, v49, v54
	v_alignbit_b32 v45, v45, v46, 30
	v_cndmask_b32_e32 v47, 33, v47, vcc
	v_alignbit_b32 v42, v46, v42, 30
	v_xor_b32_e32 v45, v45, v54
	v_sub_u32_e32 v48, 32, v47
	v_xor_b32_e32 v42, v42, v54
	v_alignbit_b32 v49, v55, v45, v48
	v_alignbit_b32 v42, v45, v42, v48
	;; [unrolled: 1-line block ×3, first 2 shown]
	v_ffbh_u32_e32 v46, v45
	v_min_u32_e32 v46, 32, v46
	v_lshrrev_b32_e32 v52, 29, v18
	v_sub_u32_e32 v48, 31, v46
	v_alignbit_b32 v42, v45, v42, v48
	v_lshlrev_b32_e32 v45, 31, v52
	v_or_b32_e32 v48, 0x33800000, v45
	v_add_lshl_u32 v46, v46, v47, 23
	v_lshrrev_b32_e32 v42, 9, v42
	v_sub_u32_e32 v46, v48, v46
	v_or_b32_e32 v42, v46, v42
	v_alignbit_b32 v46, v47, v49, 9
	v_or_b32_e32 v45, v46, v45
	v_xor_b32_e32 v45, 1.0, v45
	v_mul_f32_e32 v46, 0x3fc90fda, v45
	v_fma_f32 v47, v45, s30, -v46
	v_fmac_f32_e32 v47, 0x33a22168, v45
	v_fmac_f32_e32 v47, 0x3fc90fda, v42
	v_lshrrev_b32_e32 v18, 30, v18
	v_add_f32_e32 v42, v46, v47
	v_add_u32_e32 v18, v53, v18
                                        ; implicit-def: $vgpr47
	s_andn2_saveexec_b64 s[6:7], s[14:15]
	s_cbranch_execz .LBB4_1
	s_branch .LBB4_25
.LBB4_24:                               ;   in Loop: Header=BB4_2 Depth=1
	s_andn2_saveexec_b64 s[6:7], s[14:15]
	s_cbranch_execz .LBB4_1
.LBB4_25:                               ;   in Loop: Header=BB4_2 Depth=1
	v_cvt_i32_f32_e32 v18, v47
	v_fma_f32 v42, v47, s34, |v20|
	v_fmac_f32_e32 v42, 0xb3a22168, v47
	v_fmac_f32_e32 v42, 0xa7c234c4, v47
	s_branch .LBB4_1
.LBB4_26:
	s_load_dwordx2 s[6:7], s[4:5], 0x0
	s_load_dwordx4 s[24:27], s[4:5], 0x48
	buffer_load_dword v16, off, s[0:3], 0 offset:8
	buffer_load_dword v18, off, s[0:3], 0 offset:24
	;; [unrolled: 1-line block ×5, first 2 shown]
	s_mov_b32 s31, 0
	s_waitcnt lgkmcnt(0)
	s_max_i32 s35, s7, 1
	s_max_i32 s42, s6, 1
	s_add_u32 s28, s36, 8
	s_addc_u32 s29, s37, 0
	s_movk_i32 s43, 0x46
	s_movk_i32 s44, 0x45
	s_mov_b32 s45, 0xf800000
	s_mov_b32 s34, 0x42340000
	s_mov_b32 s30, s31
	v_mov_b32_e32 v58, 0x260
	v_mov_b32_e32 v59, 0x3e800000
	s_waitcnt vmcnt(0)
	buffer_store_dword v16, off, s[0:3], 0 offset:768 ; 4-byte Folded Spill
	s_nop 0
	buffer_store_dword v17, off, s[0:3], 0 offset:772 ; 4-byte Folded Spill
	buffer_load_dword v19, off, s[0:3], 0 offset:72
	s_waitcnt vmcnt(0)
	buffer_store_dword v18, off, s[0:3], 0 offset:776 ; 4-byte Folded Spill
	s_nop 0
	buffer_store_dword v19, off, s[0:3], 0 offset:780 ; 4-byte Folded Spill
	buffer_load_dword v16, off, s[0:3], 0 offset:104
	s_nop 0
	buffer_load_dword v18, off, s[0:3], 0 offset:132
	buffer_load_dword v24, off, s[0:3], 0 offset:136
	;; [unrolled: 1-line block ×16, first 2 shown]
	s_waitcnt vmcnt(0)
	buffer_store_dword v17, off, s[0:3], 0 offset:928 ; 4-byte Folded Spill
	buffer_load_dword v52, off, s[0:3], 0 offset:504
	buffer_load_dword v54, off, s[0:3], 0 offset:488
	s_nop 0
	buffer_load_dword v17, off, s[0:3], 0 offset:540
	buffer_load_dword v55, off, s[0:3], 0 offset:536
	s_waitcnt vmcnt(1)
	buffer_store_dword v17, off, s[0:3], 0 offset:948 ; 4-byte Folded Spill
	s_waitcnt vmcnt(1)
	buffer_store_dword v54, off, s[0:3], 0 offset:940 ; 4-byte Folded Spill
	s_nop 0
	buffer_store_dword v55, off, s[0:3], 0 offset:944 ; 4-byte Folded Spill
	buffer_load_dword v17, off, s[0:3], 0 offset:532
	s_waitcnt vmcnt(0)
	buffer_store_dword v17, off, s[0:3], 0 offset:952 ; 4-byte Folded Spill
	buffer_load_dword v74, off, s[0:3], 0 offset:516
	buffer_load_dword v76, off, s[0:3], 0 offset:520
	;; [unrolled: 1-line block ×5, first 2 shown]
	s_waitcnt vmcnt(0)
	buffer_store_dword v52, off, s[0:3], 0 offset:932 ; 4-byte Folded Spill
	s_nop 0
	buffer_store_dword v53, off, s[0:3], 0 offset:936 ; 4-byte Folded Spill
	buffer_load_dword v17, off, s[0:3], 0 offset:596
	s_waitcnt vmcnt(0)
	buffer_store_dword v17, off, s[0:3], 0 offset:956 ; 4-byte Folded Spill
	buffer_load_dword v78, off, s[0:3], 0 offset:600
	buffer_load_dword v80, off, s[0:3], 0 offset:584
	s_nop 0
	buffer_load_dword v17, off, s[0:3], 0 offset:636
	s_waitcnt vmcnt(0)
	buffer_store_dword v17, off, s[0:3], 0 offset:960 ; 4-byte Folded Spill
	buffer_load_dword v81, off, s[0:3], 0 offset:632
	s_nop 0
	buffer_load_dword v17, off, s[0:3], 0 offset:628
	s_waitcnt vmcnt(0)
	buffer_store_dword v17, off, s[0:3], 0 offset:964 ; 4-byte Folded Spill
	buffer_load_dword v82, off, s[0:3], 0 offset:612
	buffer_load_dword v84, off, s[0:3], 0 offset:616
	;; [unrolled: 1-line block ×3, first 2 shown]
	s_nop 0
	buffer_load_dword v17, off, s[0:3], 0 offset:668
	s_waitcnt vmcnt(0)
	buffer_store_dword v17, off, s[0:3], 0 offset:968 ; 4-byte Folded Spill
	buffer_load_dword v83, off, s[0:3], 0 offset:660
	s_nop 0
	buffer_load_dword v17, off, s[0:3], 0 offset:656
	s_waitcnt vmcnt(0)
	buffer_store_dword v17, off, s[0:3], 0 offset:972 ; 4-byte Folded Spill
	buffer_load_dword v17, off, s[0:3], 0 offset:652
	s_waitcnt vmcnt(0)
	buffer_store_dword v17, off, s[0:3], 0 offset:976 ; 4-byte Folded Spill
	buffer_load_dword v79, off, s[0:3], 0 offset:648
	buffer_load_dword v87, off, s[0:3], 0 offset:644
	;; [unrolled: 1-line block ×10, first 2 shown]
	s_waitcnt vmcnt(0)
	buffer_store_dword v17, off, s[0:3], 0 offset:980 ; 4-byte Folded Spill
	buffer_load_dword v17, off, s[0:3], 0 offset:756
	s_waitcnt vmcnt(0)
	buffer_store_dword v17, off, s[0:3], 0 offset:984 ; 4-byte Folded Spill
	buffer_load_dword v17, off, s[0:3], 0 offset:760
	;; [unrolled: 3-line block ×4, first 2 shown]
	buffer_load_dword v95, off, s[0:3], 0 offset:744
	buffer_load_dword v21, off, s[0:3], 0 offset:84
	s_waitcnt vmcnt(0)
	buffer_store_dword v20, off, s[0:3], 0 offset:784 ; 4-byte Folded Spill
	s_nop 0
	buffer_store_dword v21, off, s[0:3], 0 offset:788 ; 4-byte Folded Spill
	buffer_load_dword v23, off, s[0:3], 0 offset:88
	s_waitcnt vmcnt(0)
	buffer_store_dword v22, off, s[0:3], 0 offset:792 ; 4-byte Folded Spill
	s_nop 0
	buffer_store_dword v23, off, s[0:3], 0 offset:796 ; 4-byte Folded Spill
	buffer_load_dword v17, off, s[0:3], 0 offset:92
	buffer_load_dword v26, off, s[0:3], 0 offset:120
	s_waitcnt vmcnt(1)
	buffer_store_dword v17, off, s[0:3], 0 offset:996 ; 4-byte Folded Spill
	buffer_load_dword v17, off, s[0:3], 0 offset:80
	s_waitcnt vmcnt(0)
	buffer_store_dword v17, off, s[0:3], 0 offset:1000 ; 4-byte Folded Spill
	;; [unrolled: 3-line block ×4, first 2 shown]
	buffer_store_dword v26, off, s[0:3], 0 offset:824 ; 4-byte Folded Spill
	s_nop 0
	buffer_store_dword v27, off, s[0:3], 0 offset:828 ; 4-byte Folded Spill
	buffer_load_dword v17, off, s[0:3], 0 offset:124
	s_waitcnt vmcnt(0)
	buffer_store_dword v17, off, s[0:3], 0 offset:1012 ; 4-byte Folded Spill
	buffer_load_dword v17, off, s[0:3], 0 offset:112
	s_waitcnt vmcnt(0)
	;; [unrolled: 3-line block ×5, first 2 shown]
	buffer_store_dword v16, off, s[0:3], 0 offset:800 ; 4-byte Folded Spill
	s_nop 0
	buffer_store_dword v17, off, s[0:3], 0 offset:804 ; 4-byte Folded Spill
	buffer_load_dword v16, off, s[0:3], 0 offset:156
	s_nop 0
	buffer_load_dword v19, off, s[0:3], 0 offset:180
	s_waitcnt vmcnt(1)
	buffer_store_dword v16, off, s[0:3], 0 offset:1028 ; 4-byte Folded Spill
	buffer_load_dword v16, off, s[0:3], 0 offset:144
	s_waitcnt vmcnt(0)
	buffer_store_dword v16, off, s[0:3], 0 offset:1032 ; 4-byte Folded Spill
	buffer_load_dword v16, off, s[0:3], 0 offset:140
	s_waitcnt vmcnt(0)
	buffer_store_dword v16, off, s[0:3], 0 offset:1036 ; 4-byte Folded Spill
	buffer_store_dword v18, off, s[0:3], 0 offset:808 ; 4-byte Folded Spill
	s_nop 0
	buffer_store_dword v19, off, s[0:3], 0 offset:812 ; 4-byte Folded Spill
	buffer_load_dword v25, off, s[0:3], 0 offset:184
	s_waitcnt vmcnt(0)
	buffer_store_dword v24, off, s[0:3], 0 offset:816 ; 4-byte Folded Spill
	s_nop 0
	buffer_store_dword v25, off, s[0:3], 0 offset:820 ; 4-byte Folded Spill
	buffer_load_dword v16, off, s[0:3], 0 offset:188
	buffer_load_dword v34, off, s[0:3], 0 offset:216
	s_waitcnt vmcnt(1)
	buffer_store_dword v16, off, s[0:3], 0 offset:1040 ; 4-byte Folded Spill
	buffer_load_dword v16, off, s[0:3], 0 offset:176
	s_waitcnt vmcnt(0)
	buffer_store_dword v16, off, s[0:3], 0 offset:1044 ; 4-byte Folded Spill
	buffer_load_dword v16, off, s[0:3], 0 offset:172
	s_waitcnt vmcnt(0)
	buffer_store_dword v16, off, s[0:3], 0 offset:1048 ; 4-byte Folded Spill
	buffer_load_dword v16, off, s[0:3], 0 offset:212
	s_waitcnt vmcnt(0)
	buffer_store_dword v16, off, s[0:3], 0 offset:1052 ; 4-byte Folded Spill
	buffer_store_dword v34, off, s[0:3], 0 offset:856 ; 4-byte Folded Spill
	s_nop 0
	buffer_store_dword v35, off, s[0:3], 0 offset:860 ; 4-byte Folded Spill
	buffer_load_dword v16, off, s[0:3], 0 offset:220
	buffer_load_dword v29, off, s[0:3], 0 offset:248
	s_waitcnt vmcnt(1)
	buffer_store_dword v16, off, s[0:3], 0 offset:1056 ; 4-byte Folded Spill
	buffer_load_dword v16, off, s[0:3], 0 offset:208
	s_waitcnt vmcnt(0)
	buffer_store_dword v16, off, s[0:3], 0 offset:1060 ; 4-byte Folded Spill
	buffer_load_dword v16, off, s[0:3], 0 offset:204
	s_waitcnt vmcnt(0)
	buffer_store_dword v16, off, s[0:3], 0 offset:1064 ; 4-byte Folded Spill
	buffer_load_dword v16, off, s[0:3], 0 offset:244
	s_waitcnt vmcnt(0)
	buffer_store_dword v16, off, s[0:3], 0 offset:1068 ; 4-byte Folded Spill
	buffer_store_dword v28, off, s[0:3], 0 offset:832 ; 4-byte Folded Spill
	s_nop 0
	buffer_store_dword v29, off, s[0:3], 0 offset:836 ; 4-byte Folded Spill
	buffer_load_dword v16, off, s[0:3], 0 offset:252
	buffer_load_dword v31, off, s[0:3], 0 offset:276
	s_waitcnt vmcnt(1)
	buffer_store_dword v16, off, s[0:3], 0 offset:1072 ; 4-byte Folded Spill
	buffer_load_dword v16, off, s[0:3], 0 offset:240
	s_waitcnt vmcnt(0)
	buffer_store_dword v16, off, s[0:3], 0 offset:1076 ; 4-byte Folded Spill
	buffer_load_dword v16, off, s[0:3], 0 offset:236
	s_waitcnt vmcnt(0)
	buffer_store_dword v16, off, s[0:3], 0 offset:1080 ; 4-byte Folded Spill
	buffer_store_dword v30, off, s[0:3], 0 offset:840 ; 4-byte Folded Spill
	s_nop 0
	buffer_store_dword v31, off, s[0:3], 0 offset:844 ; 4-byte Folded Spill
	buffer_load_dword v33, off, s[0:3], 0 offset:280
	s_waitcnt vmcnt(0)
	buffer_store_dword v32, off, s[0:3], 0 offset:848 ; 4-byte Folded Spill
	s_nop 0
	buffer_store_dword v33, off, s[0:3], 0 offset:852 ; 4-byte Folded Spill
	buffer_load_dword v16, off, s[0:3], 0 offset:284
	buffer_load_dword v42, off, s[0:3], 0 offset:312
	s_waitcnt vmcnt(1)
	buffer_store_dword v16, off, s[0:3], 0 offset:1084 ; 4-byte Folded Spill
	buffer_load_dword v16, off, s[0:3], 0 offset:272
	s_waitcnt vmcnt(0)
	buffer_store_dword v16, off, s[0:3], 0 offset:1088 ; 4-byte Folded Spill
	buffer_load_dword v16, off, s[0:3], 0 offset:268
	s_waitcnt vmcnt(0)
	buffer_store_dword v16, off, s[0:3], 0 offset:1092 ; 4-byte Folded Spill
	buffer_load_dword v16, off, s[0:3], 0 offset:308
	s_waitcnt vmcnt(0)
	buffer_store_dword v16, off, s[0:3], 0 offset:1096 ; 4-byte Folded Spill
	buffer_store_dword v42, off, s[0:3], 0 offset:888 ; 4-byte Folded Spill
	s_nop 0
	buffer_store_dword v43, off, s[0:3], 0 offset:892 ; 4-byte Folded Spill
	buffer_load_dword v16, off, s[0:3], 0 offset:316
	buffer_load_dword v37, off, s[0:3], 0 offset:344
	s_waitcnt vmcnt(1)
	buffer_store_dword v16, off, s[0:3], 0 offset:1100 ; 4-byte Folded Spill
	buffer_load_dword v16, off, s[0:3], 0 offset:304
	s_waitcnt vmcnt(0)
	buffer_store_dword v16, off, s[0:3], 0 offset:1104 ; 4-byte Folded Spill
	buffer_load_dword v16, off, s[0:3], 0 offset:300
	s_waitcnt vmcnt(0)
	buffer_store_dword v16, off, s[0:3], 0 offset:1108 ; 4-byte Folded Spill
	buffer_load_dword v16, off, s[0:3], 0 offset:340
	s_waitcnt vmcnt(0)
	buffer_store_dword v16, off, s[0:3], 0 offset:1112 ; 4-byte Folded Spill
	buffer_store_dword v36, off, s[0:3], 0 offset:864 ; 4-byte Folded Spill
	s_nop 0
	buffer_store_dword v37, off, s[0:3], 0 offset:868 ; 4-byte Folded Spill
	buffer_load_dword v16, off, s[0:3], 0 offset:348
	;; [unrolled: 50-line block ×3, first 2 shown]
	v_mov_b32_e32 v45, 0
	buffer_load_dword v49, off, s[0:3], 0 offset:472
	s_waitcnt vmcnt(1)
	buffer_store_dword v16, off, s[0:3], 0 offset:1160 ; 4-byte Folded Spill
	buffer_load_dword v16, off, s[0:3], 0 offset:432
	s_waitcnt vmcnt(0)
	buffer_store_dword v16, off, s[0:3], 0 offset:1164 ; 4-byte Folded Spill
	;; [unrolled: 3-line block ×3, first 2 shown]
	buffer_store_dword v48, off, s[0:3], 0 offset:912 ; 4-byte Folded Spill
	s_nop 0
	buffer_store_dword v49, off, s[0:3], 0 offset:916 ; 4-byte Folded Spill
	buffer_load_dword v16, off, s[0:3], 0 offset:476
	buffer_load_dword v47, off, s[0:3], 0 offset:468
	v_mov_b32_e32 v48, 0x42980000
	s_waitcnt vmcnt(1)
	buffer_store_dword v16, off, s[0:3], 0 offset:1172 ; 4-byte Folded Spill
	s_waitcnt vmcnt(1)
	buffer_store_dword v46, off, s[0:3], 0 offset:904 ; 4-byte Folded Spill
	s_nop 0
	buffer_store_dword v47, off, s[0:3], 0 offset:908 ; 4-byte Folded Spill
	buffer_load_dword v16, off, s[0:3], 0 offset:464
	s_waitcnt vmcnt(0)
	buffer_store_dword v16, off, s[0:3], 0 offset:1176 ; 4-byte Folded Spill
	buffer_load_dword v16, off, s[0:3], 0 offset:460
	s_waitcnt vmcnt(0)
	buffer_store_dword v16, off, s[0:3], 0 offset:1180 ; 4-byte Folded Spill
	buffer_load_dword v16, off, s[0:3], 0 offset:508
	s_waitcnt vmcnt(0)
	buffer_store_dword v16, off, s[0:3], 0 offset:1184 ; 4-byte Folded Spill
	buffer_load_dword v16, off, s[0:3], 0 offset:496
	s_waitcnt vmcnt(0)
	buffer_store_dword v16, off, s[0:3], 0 offset:1188 ; 4-byte Folded Spill
	buffer_load_dword v16, off, s[0:3], 0 offset:492
	s_waitcnt vmcnt(0)
	buffer_store_dword v16, off, s[0:3], 0 offset:1192 ; 4-byte Folded Spill
	buffer_load_dword v16, off, s[0:3], 0 offset:528
	s_waitcnt vmcnt(0)
	buffer_store_dword v16, off, s[0:3], 0 offset:1196 ; 4-byte Folded Spill
	buffer_load_dword v16, off, s[0:3], 0 offset:524
	s_waitcnt vmcnt(0)
	buffer_store_dword v16, off, s[0:3], 0 offset:1200 ; 4-byte Folded Spill
	buffer_load_dword v16, off, s[0:3], 0 offset:572
	s_waitcnt vmcnt(0)
	buffer_store_dword v16, off, s[0:3], 0 offset:1204 ; 4-byte Folded Spill
	buffer_load_dword v16, off, s[0:3], 0 offset:560
	s_waitcnt vmcnt(0)
	buffer_store_dword v16, off, s[0:3], 0 offset:1208 ; 4-byte Folded Spill
	buffer_load_dword v16, off, s[0:3], 0 offset:556
	s_waitcnt vmcnt(0)
	buffer_store_dword v16, off, s[0:3], 0 offset:1212 ; 4-byte Folded Spill
	buffer_load_dword v16, off, s[0:3], 0 offset:604
	s_waitcnt vmcnt(0)
	buffer_store_dword v16, off, s[0:3], 0 offset:1216 ; 4-byte Folded Spill
	buffer_load_dword v16, off, s[0:3], 0 offset:592
	s_waitcnt vmcnt(0)
	buffer_store_dword v16, off, s[0:3], 0 offset:1220 ; 4-byte Folded Spill
	buffer_load_dword v16, off, s[0:3], 0 offset:588
	s_waitcnt vmcnt(0)
	buffer_store_dword v16, off, s[0:3], 0 offset:1224 ; 4-byte Folded Spill
	buffer_load_dword v16, off, s[0:3], 0 offset:624
	s_waitcnt vmcnt(0)
	buffer_store_dword v16, off, s[0:3], 0 offset:1228 ; 4-byte Folded Spill
	buffer_load_dword v16, off, s[0:3], 0 offset:620
	s_waitcnt vmcnt(0)
	buffer_store_dword v16, off, s[0:3], 0 offset:1232 ; 4-byte Folded Spill
	buffer_load_dword v16, off, s[0:3], 0
	s_waitcnt vmcnt(0)
	buffer_store_dword v16, off, s[0:3], 0 offset:1236 ; 4-byte Folded Spill
	buffer_load_dword v16, off, s[0:3], 0 offset:12
	s_waitcnt vmcnt(0)
	buffer_store_dword v16, off, s[0:3], 0 offset:1240 ; 4-byte Folded Spill
	buffer_load_dword v16, off, s[0:3], 0 offset:16
	;; [unrolled: 3-line block ×46, first 2 shown]
	buffer_load_dword v69, off, s[0:3], 0 offset:684
	buffer_load_dword v70, off, s[0:3], 0 offset:680
	;; [unrolled: 1-line block ×6, first 2 shown]
.LBB4_27:                               ; =>This Loop Header: Depth=1
                                        ;     Child Loop BB4_28 Depth 2
	s_lshl_b64 s[4:5], s[30:31], 4
	s_add_u32 s4, s38, s4
	s_addc_u32 s5, s39, s5
	global_load_dwordx4 v[16:19], v45, s[4:5]
	buffer_load_dword v22, off, s[0:3], 0 offset:976 ; 4-byte Folded Reload
	s_mov_b32 s46, s35
	s_mov_b64 s[36:37], s[28:29]
	s_waitcnt vmcnt(1)
	v_pk_mul_f32 v[20:21], v[16:17], v[86:87]
	s_waitcnt vmcnt(0)
	v_add_f32_e32 v20, v22, v20
	v_add_f32_e32 v21, v20, v21
	v_ashrrev_i32_e32 v23, 31, v19
	v_mov_b32_e32 v22, v19
	buffer_load_dword v19, off, s[0:3], 0 offset:1236 ; 4-byte Folded Reload
	buffer_load_dword v20, off, s[0:3], 0 offset:1240 ; 4-byte Folded Reload
	v_fma_f32 v49, v16, v71, v73
	v_fmac_f32_e32 v49, v17, v72
	v_fmac_f32_e32 v49, v18, v47
	s_waitcnt vmcnt(0)
	v_fma_f32 v24, v16, v19, v20
	buffer_load_dword v19, off, s[0:3], 0 offset:1264 ; 4-byte Folded Reload
	buffer_load_dword v20, off, s[0:3], 0 offset:1268 ; 4-byte Folded Reload
	s_waitcnt vmcnt(0)
	v_fma_f32 v25, v16, v19, v20
	buffer_load_dword v19, off, s[0:3], 0 offset:1244 ; 4-byte Folded Reload
	buffer_load_dword v20, off, s[0:3], 0 offset:1248 ; 4-byte Folded Reload
	;; [unrolled: 4-line block ×31, first 2 shown]
	s_waitcnt vmcnt(0)
	v_fma_f32 v127, v16, v20, v19
	buffer_load_dword v19, off, s[0:3], 0 offset:1256 ; 4-byte Folded Reload
	s_waitcnt vmcnt(0)
	v_fmac_f32_e32 v24, v17, v19
	buffer_load_dword v19, off, s[0:3], 0 offset:1252 ; 4-byte Folded Reload
	s_waitcnt vmcnt(0)
	v_fmac_f32_e32 v26, v17, v19
	;; [unrolled: 3-line block ×3, first 2 shown]
	buffer_load_dword v19, off, s[0:3], 0 offset:1284 ; 4-byte Folded Reload
	buffer_load_dword v52, off, s[0:3], 0 offset:784 ; 4-byte Folded Reload
	buffer_load_dword v53, off, s[0:3], 0 offset:788 ; 4-byte Folded Reload
	s_waitcnt vmcnt(2)
	v_fmac_f32_e32 v27, v17, v19
	buffer_load_dword v19, off, s[0:3], 0 offset:1292 ; 4-byte Folded Reload
	s_waitcnt vmcnt(1)
	v_pk_fma_f32 v[28:29], v[16:17], v[52:53], v[28:29] op_sel:[1,0,0]
	s_waitcnt vmcnt(0)
	v_fmac_f32_e32 v30, v17, v19
	buffer_load_dword v19, off, s[0:3], 0 offset:1008 ; 4-byte Folded Reload
	s_waitcnt vmcnt(0)
	v_fmac_f32_e32 v32, v17, v19
	buffer_load_dword v19, off, s[0:3], 0 offset:1024 ; 4-byte Folded Reload
	s_waitcnt vmcnt(0)
	v_fmac_f32_e32 v31, v17, v19
	buffer_load_dword v19, off, s[0:3], 0 offset:1304 ; 4-byte Folded Reload
	buffer_load_dword v52, off, s[0:3], 0 offset:808 ; 4-byte Folded Reload
	buffer_load_dword v53, off, s[0:3], 0 offset:812 ; 4-byte Folded Reload
	s_waitcnt vmcnt(2)
	v_fmac_f32_e32 v33, v17, v19
	buffer_load_dword v19, off, s[0:3], 0 offset:1312 ; 4-byte Folded Reload
	s_waitcnt vmcnt(1)
	v_pk_fma_f32 v[34:35], v[16:17], v[52:53], v[34:35] op_sel:[1,0,0]
	s_waitcnt vmcnt(0)
	v_fmac_f32_e32 v36, v17, v19
	buffer_load_dword v19, off, s[0:3], 0 offset:1052 ; 4-byte Folded Reload
	s_waitcnt vmcnt(0)
	v_fmac_f32_e32 v38, v17, v19
	buffer_load_dword v19, off, s[0:3], 0 offset:1068 ; 4-byte Folded Reload
	s_waitcnt vmcnt(0)
	v_fmac_f32_e32 v37, v17, v19
	;; [unrolled: 16-line block ×4, first 2 shown]
	buffer_load_dword v19, off, s[0:3], 0 offset:1364 ; 4-byte Folded Reload
	buffer_load_dword v52, off, s[0:3], 0 offset:904 ; 4-byte Folded Reload
	;; [unrolled: 1-line block ×3, first 2 shown]
	s_waitcnt vmcnt(2)
	v_fmac_f32_e32 v65, v17, v19
	buffer_load_dword v19, off, s[0:3], 0 offset:1372 ; 4-byte Folded Reload
	s_waitcnt vmcnt(1)
	v_pk_fma_f32 v[124:125], v[16:17], v[52:53], v[96:97] op_sel:[1,0,0]
	s_waitcnt vmcnt(0)
	v_fmac_f32_e32 v126, v17, v19
	buffer_load_dword v19, off, s[0:3], 0 offset:1184 ; 4-byte Folded Reload
	buffer_load_dword v20, off, s[0:3], 0 offset:1188 ; 4-byte Folded Reload
	s_waitcnt vmcnt(0)
	v_fma_f32 v52, v16, v20, v19
	buffer_load_dword v19, off, s[0:3], 0 offset:928 ; 4-byte Folded Reload
	s_waitcnt vmcnt(0)
	v_fmac_f32_e32 v52, v17, v19
	buffer_load_dword v19, off, s[0:3], 0 offset:952 ; 4-byte Folded Reload
	buffer_load_dword v54, off, s[0:3], 0 offset:768 ; 4-byte Folded Reload
	;; [unrolled: 1-line block ×3, first 2 shown]
	s_waitcnt vmcnt(2)
	v_fmac_f32_e32 v127, v17, v19
	s_waitcnt vmcnt(0)
	v_pk_fma_f32 v[96:97], v[18:19], v[54:55], v[24:25] op_sel_hi:[0,1,1]
	buffer_load_dword v24, off, s[0:3], 0 offset:776 ; 4-byte Folded Reload
	buffer_load_dword v25, off, s[0:3], 0 offset:780 ; 4-byte Folded Reload
	s_waitcnt vmcnt(0)
	v_pk_fma_f32 v[98:99], v[18:19], v[24:25], v[26:27] op_sel_hi:[0,1,1]
	buffer_load_dword v24, off, s[0:3], 0 offset:792 ; 4-byte Folded Reload
	buffer_load_dword v25, off, s[0:3], 0 offset:796 ; 4-byte Folded Reload
	;; [unrolled: 4-line block ×16, first 2 shown]
	s_waitcnt vmcnt(0)
	v_fma_f32 v53, v16, v20, v19
	buffer_load_dword v19, off, s[0:3], 0 offset:1384 ; 4-byte Folded Reload
	buffer_load_dword v24, off, s[0:3], 0 offset:932 ; 4-byte Folded Reload
	;; [unrolled: 1-line block ×3, first 2 shown]
	s_waitcnt vmcnt(2)
	v_fmac_f32_e32 v53, v17, v19
	s_waitcnt vmcnt(0)
	v_pk_fma_f32 v[28:29], v[18:19], v[24:25], v[52:53] op_sel_hi:[0,1,1]
	buffer_load_dword v19, off, s[0:3], 0 offset:1200 ; 4-byte Folded Reload
	buffer_load_dword v20, off, s[0:3], 0 offset:1376 ; 4-byte Folded Reload
	s_waitcnt vmcnt(0)
	v_fma_f32 v24, v16, v20, v19
	buffer_load_dword v19, off, s[0:3], 0 offset:1204 ; 4-byte Folded Reload
	buffer_load_dword v20, off, s[0:3], 0 offset:1208 ; 4-byte Folded Reload
	s_waitcnt vmcnt(0)
	v_fma_f32 v25, v16, v20, v19
	v_pk_fma_f32 v[24:25], v[16:17], v[74:75], v[24:25] op_sel:[1,0,0]
	v_pk_fma_f32 v[30:31], v[18:19], v[76:77], v[24:25] op_sel_hi:[0,1,1]
	buffer_load_dword v19, off, s[0:3], 0 offset:1224 ; 4-byte Folded Reload
	buffer_load_dword v20, off, s[0:3], 0 offset:1388 ; 4-byte Folded Reload
	s_waitcnt vmcnt(0)
	v_fma_f32 v24, v16, v20, v19
	buffer_load_dword v19, off, s[0:3], 0 offset:1392 ; 4-byte Folded Reload
	s_waitcnt vmcnt(0)
	v_fmac_f32_e32 v24, v17, v19
	buffer_load_dword v19, off, s[0:3], 0 offset:1216 ; 4-byte Folded Reload
	buffer_load_dword v20, off, s[0:3], 0 offset:1220 ; 4-byte Folded Reload
	s_waitcnt vmcnt(0)
	v_fma_f32 v20, v16, v20, v19
	buffer_load_dword v19, off, s[0:3], 0 offset:956 ; 4-byte Folded Reload
	s_waitcnt vmcnt(0)
	v_fmac_f32_e32 v20, v17, v19
	;; [unrolled: 7-line block ×3, first 2 shown]
	v_pk_fma_f32 v[32:33], v[18:19], v[80:81], v[24:25] op_sel_hi:[0,1,1]
	v_pk_fma_f32 v[34:35], v[18:19], v[78:79], v[20:21] op_sel_hi:[0,1,1]
	buffer_load_dword v19, off, s[0:3], 0 offset:1232 ; 4-byte Folded Reload
	buffer_load_dword v20, off, s[0:3], 0 offset:1396 ; 4-byte Folded Reload
	s_waitcnt vmcnt(0)
	v_fma_f32 v20, v16, v20, v19
	buffer_load_dword v19, off, s[0:3], 0 offset:968 ; 4-byte Folded Reload
	buffer_load_dword v21, off, s[0:3], 0 offset:972 ; 4-byte Folded Reload
	s_waitcnt vmcnt(0)
	v_fma_f32 v21, v16, v21, v19
	v_pk_fma_f32 v[20:21], v[16:17], v[82:83], v[20:21] op_sel:[1,0,0]
	v_pk_fma_f32 v[36:37], v[18:19], v[84:85], v[20:21] op_sel_hi:[0,1,1]
	buffer_load_dword v19, off, s[0:3], 0 offset:1400 ; 4-byte Folded Reload
	v_pk_fma_f32 v[20:21], v[16:17], v[88:89], v[92:93] op_sel_hi:[0,1,1]
	v_pk_fma_f32 v[20:21], v[16:17], v[90:91], v[20:21] op_sel:[1,0,0]
	s_waitcnt vmcnt(0)
	v_fma_f32 v60, v16, v19, v69
	buffer_load_dword v19, off, s[0:3], 0 offset:1404 ; 4-byte Folded Reload
	s_waitcnt vmcnt(0)
	v_fmac_f32_e32 v60, v17, v19
	buffer_load_dword v19, off, s[0:3], 0 offset:1412 ; 4-byte Folded Reload
	v_fmac_f32_e32 v60, v18, v70
	s_waitcnt vmcnt(0)
	v_fma_f32 v61, v16, v68, v19
	buffer_load_dword v19, off, s[0:3], 0 offset:1408 ; 4-byte Folded Reload
	s_waitcnt vmcnt(0)
	v_fmac_f32_e32 v61, v17, v19
	buffer_load_dword v19, off, s[0:3], 0 offset:1416 ; 4-byte Folded Reload
	s_waitcnt vmcnt(0)
	v_fmac_f32_e32 v61, v18, v19
	v_pk_fma_f32 v[38:39], v[18:19], v[94:95], v[20:21] op_sel_hi:[0,1,1]
	buffer_load_dword v19, off, s[0:3], 0 offset:980 ; 4-byte Folded Reload
	buffer_load_dword v20, off, s[0:3], 0 offset:992 ; 4-byte Folded Reload
	s_waitcnt vmcnt(0)
	v_fma_f32 v50, v16, v19, v20
	buffer_load_dword v16, off, s[0:3], 0 offset:984 ; 4-byte Folded Reload
	s_waitcnt vmcnt(0)
	v_fmac_f32_e32 v50, v17, v16
	buffer_load_dword v16, off, s[0:3], 0 offset:988 ; 4-byte Folded Reload
	s_waitcnt vmcnt(0)
	v_fmac_f32_e32 v50, v18, v16
	v_lshlrev_b64 v[16:17], 4, v[22:23]
	v_mov_b32_e32 v18, s27
	v_add_co_u32_e32 v16, vcc, s26, v16
	v_addc_co_u32_e32 v17, vcc, v18, v17, vcc
	global_load_dwordx4 v[16:19], v[16:17], off
	s_waitcnt vmcnt(0)
	v_cmp_eq_u32_e64 s[8:9], s43, v16
	v_cmp_eq_u32_e64 s[10:11], s44, v16
	v_cmp_gt_f32_e64 s[12:13], 0, v18
	v_mov_b32_e32 v16, 0x40b00000
	v_cndmask_b32_e64 v62, 1.0, v16, s[12:13]
	v_mov_b32_e32 v16, 0xff7fffff
	v_cmp_lt_f32_e64 s[6:7], 0, v18
	v_cndmask_b32_e64 v63, v16, 1.0, s[12:13]
	v_mov_b32_e32 v40, v19
.LBB4_28:                               ;   Parent Loop BB4_27 Depth=1
                                        ; =>  This Inner Loop Header: Depth=2
	global_load_dwordx4 v[20:23], v45, s[36:37] offset:-8
	v_mov_b32_e32 v16, s27
	s_waitcnt vmcnt(0)
	v_ashrrev_i32_e32 v25, 31, v23
	v_mov_b32_e32 v24, v23
	v_lshlrev_b64 v[24:25], 4, v[24:25]
	v_add_co_u32_e32 v24, vcc, s26, v24
	v_addc_co_u32_e32 v25, vcc, v16, v25, vcc
	global_load_dwordx4 v[24:27], v[24:25], off
	v_pk_add_f32 v[52:53], v[38:39], v[20:21] neg_lo:[0,1] neg_hi:[0,1]
	v_pk_mul_f32 v[52:53], v[52:53], v[52:53]
	v_pk_add_f32 v[56:57], v[98:99], v[20:21] op_sel:[0,1] neg_lo:[0,1] neg_hi:[0,1]
	v_pk_add_f32 v[54:55], v[96:97], v[20:21] op_sel_hi:[1,0] neg_lo:[0,1] neg_hi:[0,1]
	v_pk_mul_f32 v[56:57], v[56:57], v[56:57]
	v_pk_fma_f32 v[54:55], v[54:55], v[54:55], v[56:57]
	s_waitcnt vmcnt(0)
	v_add_f32_e32 v44, v17, v25
	v_div_scale_f32 v16, s[4:5], v44, v44, 1.0
	v_rcp_f32_e32 v19, v16
	v_cmp_lt_f32_e64 s[4:5], 0, v26
	s_and_b64 s[4:5], s[4:5], s[12:13]
	v_cmp_neq_f32_e64 s[14:15], 0, v26
	v_fma_f32 v23, -v16, v19, 1.0
	v_fmac_f32_e32 v19, v23, v19
	v_div_scale_f32 v23, vcc, 1.0, v44, 1.0
	v_mul_f32_e32 v25, v23, v19
	v_fma_f32 v41, -v16, v25, v23
	v_fmac_f32_e32 v25, v41, v19
	v_fma_f32 v16, -v16, v25, v23
	v_div_fmas_f32 v16, v16, v19, v25
	v_cmp_eq_u32_e32 vcc, s43, v24
	s_and_b64 vcc, vcc, s[8:9]
	v_cndmask_b32_e64 v25, 2.0, 4.0, vcc
	v_cndmask_b32_e32 v42, 0.5, v59, vcc
	v_cmp_eq_u32_e32 vcc, s44, v24
	s_or_b64 s[40:41], vcc, s[10:11]
	v_cmp_gt_f32_e32 vcc, 0, v26
	v_cndmask_b32_e32 v19, v63, v62, vcc
	s_and_b64 s[18:19], vcc, s[6:7]
	v_cndmask_b32_e64 v23, v18, -v18, s[4:5]
	v_div_scale_f32 v24, s[4:5], v19, v19, 1.0
	v_div_fixup_f32 v46, v16, v44, 1.0
	v_cndmask_b32_e64 v16, v26, -v26, s[18:19]
	v_rcp_f32_e32 v26, v24
	v_add_f32_e32 v16, v16, v23
	v_sub_f32_e32 v23, v49, v22
	v_mov_b32_e32 v66, v27
	v_fma_f32 v41, -v24, v26, 1.0
	v_fmac_f32_e32 v26, v41, v26
	v_div_scale_f32 v41, vcc, 1.0, v19, 1.0
	v_mul_f32_e32 v43, v41, v26
	v_fma_f32 v51, -v24, v43, v41
	v_fmac_f32_e32 v43, v51, v26
	v_fma_f32 v24, -v24, v43, v41
	v_div_fmas_f32 v24, v24, v26, v43
	v_sub_f32_e32 v43, v61, v21
	v_sub_f32_e32 v41, v60, v20
	v_mul_f32_e32 v43, v43, v43
	v_fmac_f32_e32 v43, v41, v41
	v_fmac_f32_e32 v43, v23, v23
	v_cmp_gt_f32_e32 vcc, s45, v43
	v_mul_f32_e32 v23, 0x4f800000, v43
	v_cndmask_b32_e32 v23, v43, v23, vcc
	v_sqrt_f32_e32 v41, v23
	v_div_fixup_f32 v24, v24, v19, 1.0
	v_sub_f32_e32 v26, v50, v22
	v_add_u32_e32 v43, -1, v41
	v_fma_f32 v51, -v43, v41, v23
	v_cmp_ge_f32_e64 s[4:5], 0, v51
	v_add_u32_e32 v51, 1, v41
	v_cndmask_b32_e64 v43, v41, v43, s[4:5]
	v_fma_f32 v41, -v51, v41, v23
	v_cmp_lt_f32_e64 s[4:5], 0, v41
	v_cndmask_b32_e64 v41, v43, v51, s[4:5]
	v_mul_f32_e32 v43, 0x37800000, v41
	v_cndmask_b32_e32 v41, v41, v43, vcc
	v_cmp_class_f32_e32 vcc, v23, v58
	v_cndmask_b32_e32 v23, v41, v23, vcc
	v_sub_f32_e32 v41, v23, v44
	v_cmp_gt_f32_e32 vcc, 0, v41
	v_fma_f32 v23, -v46, v23, 1.0
	v_cndmask_b32_e32 v43, 0, v48, vcc
	v_fmac_f32_e32 v14, v23, v43
	v_fma_f32 v23, -v42, v41, 1.0
	v_cmp_lt_f32_e64 s[4:5], v41, v25
	v_cndmask_b32_e64 v23, v23, 1.0, vcc
	v_cndmask_b32_e64 v43, 0, 1.0, s[4:5]
	v_mul_f32_e32 v51, v43, v23
	v_fma_f32 v23, -v24, v41, 1.0
	v_cndmask_b32_e64 v65, v23, 1.0, vcc
	v_add_f32_e32 v23, v52, v53
	v_fmac_f32_e32 v23, v26, v26
	v_cmp_gt_f32_e32 vcc, s45, v23
	v_mul_f32_e32 v26, 0x4f800000, v23
	v_cndmask_b32_e32 v23, v23, v26, vcc
	v_sqrt_f32_e32 v26, v23
	v_cmp_lt_f32_e64 s[4:5], v41, v19
	s_and_b64 s[4:5], s[14:15], s[4:5]
	v_cndmask_b32_e64 v41, 0, 1.0, s[4:5]
	v_mul_f32_e32 v64, v16, v41
	v_add_u32_e32 v41, -1, v26
	v_fma_f32 v43, -v41, v26, v23
	v_cmp_ge_f32_e64 s[4:5], 0, v43
	v_add_u32_e32 v43, 1, v26
	v_cndmask_b32_e64 v41, v26, v41, s[4:5]
	v_fma_f32 v26, -v43, v26, v23
	v_cmp_lt_f32_e64 s[4:5], 0, v26
	v_cndmask_b32_e64 v26, v41, v43, s[4:5]
	v_mul_f32_e32 v41, 0x37800000, v26
	v_cndmask_b32_e32 v26, v26, v41, vcc
	v_cmp_class_f32_e32 vcc, v23, v58
	v_cndmask_b32_e32 v23, v26, v23, vcc
	v_sub_f32_e32 v52, v23, v44
	v_cmp_gt_f32_e32 vcc, 0, v52
	v_fma_f32 v23, -v46, v23, 1.0
	v_cndmask_b32_e32 v26, 0, v48, vcc
	v_fmac_f32_e32 v15, v23, v26
	v_fma_f32 v23, -v42, v52, 1.0
	v_cmp_lt_f32_e64 s[4:5], v52, v25
	v_cndmask_b32_e64 v67, v23, 1.0, vcc
	v_cndmask_b32_e64 v41, 0, 1.0, s[4:5]
	v_pk_mul_f32 v[26:27], v[40:41], v[66:67]
	v_pk_add_f32 v[66:67], v[100:101], v[22:23] op_sel_hi:[1,0] neg_lo:[0,1] neg_hi:[0,1]
	v_pk_fma_f32 v[54:55], v[66:67], v[66:67], v[54:55]
	v_cmp_gt_f32_e64 s[4:5], s45, v55
	v_mul_f32_e32 v23, 0x4f800000, v55
	v_cndmask_b32_e64 v23, v55, v23, s[4:5]
	v_sqrt_f32_e32 v41, v23
	v_add_u32_e32 v43, -1, v41
	v_fma_f32 v53, -v43, v41, v23
	v_cmp_ge_f32_e64 s[18:19], 0, v53
	v_add_u32_e32 v53, 1, v41
	v_cndmask_b32_e64 v43, v41, v43, s[18:19]
	v_fma_f32 v41, -v53, v41, v23
	v_cmp_lt_f32_e64 s[18:19], 0, v41
	v_cndmask_b32_e64 v41, v43, v53, s[18:19]
	v_mul_f32_e32 v43, 0x37800000, v41
	v_cndmask_b32_e64 v41, v41, v43, s[4:5]
	v_cmp_class_f32_e64 s[4:5], v23, v58
	v_cndmask_b32_e64 v55, v41, v23, s[4:5]
	v_cmp_gt_f32_e64 s[4:5], s45, v54
	v_mul_f32_e32 v23, 0x4f800000, v54
	v_cndmask_b32_e64 v23, v54, v23, s[4:5]
	v_sqrt_f32_e32 v41, v23
	v_add_u32_e32 v43, -1, v41
	v_fma_f32 v53, -v43, v41, v23
	v_cmp_ge_f32_e64 s[18:19], 0, v53
	v_add_u32_e32 v53, 1, v41
	v_cndmask_b32_e64 v43, v41, v43, s[18:19]
	v_fma_f32 v41, -v53, v41, v23
	v_cmp_lt_f32_e64 s[18:19], 0, v41
	v_cndmask_b32_e64 v41, v43, v53, s[18:19]
	v_mul_f32_e32 v43, 0x37800000, v41
	v_cndmask_b32_e64 v41, v41, v43, s[4:5]
	v_cmp_class_f32_e64 s[4:5], v23, v58
	v_cndmask_b32_e64 v54, v41, v23, s[4:5]
	v_pk_add_f32 v[56:57], v[54:55], v[44:45] op_sel_hi:[1,0] neg_lo:[0,1] neg_hi:[0,1]
	v_cmp_gt_f32_e64 s[4:5], 0, v56
	v_cmp_gt_f32_e64 s[18:19], 0, v57
	v_pk_fma_f32 v[54:55], v[46:47], v[54:55], 1.0 op_sel_hi:[0,1,0] neg_lo:[1,0,0] neg_hi:[1,0,0]
	v_cndmask_b32_e64 v67, 0, v48, s[18:19]
	v_cndmask_b32_e64 v66, 0, v48, s[4:5]
	v_pk_fma_f32 v[0:1], v[54:55], v[66:67], v[0:1]
	v_pk_fma_f32 v[54:55], v[42:43], v[56:57], 1.0 op_sel_hi:[0,1,0] neg_lo:[1,0,0] neg_hi:[1,0,0]
	v_cmp_lt_f32_e64 s[20:21], v56, v25
	v_cmp_lt_f32_e64 s[22:23], v57, v25
	v_cndmask_b32_e64 v55, v55, 1.0, s[18:19]
	v_cndmask_b32_e64 v54, v54, 1.0, s[4:5]
	v_cndmask_b32_e64 v67, 0, 1.0, s[22:23]
	v_cndmask_b32_e64 v66, 0, 1.0, s[20:21]
	v_pk_mul_f32 v[54:55], v[66:67], v[54:55]
	v_cmp_lt_f32_e64 s[20:21], v57, v19
	v_cmp_lt_f32_e64 s[22:23], v56, v19
	s_and_b64 s[22:23], s[14:15], s[22:23]
	s_and_b64 s[20:21], s[14:15], s[20:21]
	v_pk_mul_f32 v[54:55], v[26:27], v[54:55] op_sel_hi:[0,1]
	v_pk_fma_f32 v[66:67], v[24:25], v[56:57], 1.0 op_sel_hi:[0,1,0] neg_lo:[1,0,0] neg_hi:[1,0,0]
	v_cndmask_b32_e64 v57, 0, 1.0, s[20:21]
	v_cndmask_b32_e64 v56, 0, 1.0, s[22:23]
	v_cndmask_b32_e64 v55, v55, -|v55|, s[40:41]
	v_cndmask_b32_e64 v54, v54, -|v54|, s[40:41]
	v_pk_mul_f32 v[56:57], v[16:17], v[56:57] op_sel_hi:[0,1]
	v_cndmask_b32_e64 v67, v67, 1.0, s[18:19]
	v_cndmask_b32_e64 v66, v66, 1.0, s[4:5]
	v_pk_fma_f32 v[0:1], v[54:55], s[34:35], v[0:1] op_sel_hi:[1,0,1]
	v_pk_fma_f32 v[0:1], v[66:67], v[56:57], v[0:1]
	v_pk_add_f32 v[66:67], v[104:105], v[20:21] op_sel:[0,1] neg_lo:[0,1] neg_hi:[0,1]
	v_pk_add_f32 v[56:57], v[102:103], v[20:21] op_sel_hi:[1,0] neg_lo:[0,1] neg_hi:[0,1]
	v_pk_mul_f32 v[66:67], v[66:67], v[66:67]
	v_pk_add_f32 v[54:55], v[106:107], v[22:23] op_sel_hi:[1,0] neg_lo:[0,1] neg_hi:[0,1]
	v_pk_fma_f32 v[56:57], v[56:57], v[56:57], v[66:67]
	v_pk_fma_f32 v[54:55], v[54:55], v[54:55], v[56:57]
	v_cmp_gt_f32_e64 s[4:5], s45, v55
	v_mul_f32_e32 v23, 0x4f800000, v55
	v_cndmask_b32_e64 v23, v55, v23, s[4:5]
	v_sqrt_f32_e32 v41, v23
	v_add_u32_e32 v43, -1, v41
	v_fma_f32 v53, -v43, v41, v23
	v_cmp_ge_f32_e64 s[18:19], 0, v53
	v_add_u32_e32 v53, 1, v41
	v_cndmask_b32_e64 v43, v41, v43, s[18:19]
	v_fma_f32 v41, -v53, v41, v23
	v_cmp_lt_f32_e64 s[18:19], 0, v41
	v_cndmask_b32_e64 v41, v43, v53, s[18:19]
	v_mul_f32_e32 v43, 0x37800000, v41
	v_cndmask_b32_e64 v41, v41, v43, s[4:5]
	v_cmp_class_f32_e64 s[4:5], v23, v58
	v_cndmask_b32_e64 v55, v41, v23, s[4:5]
	v_cmp_gt_f32_e64 s[4:5], s45, v54
	v_mul_f32_e32 v23, 0x4f800000, v54
	v_cndmask_b32_e64 v23, v54, v23, s[4:5]
	v_sqrt_f32_e32 v41, v23
	v_add_u32_e32 v43, -1, v41
	v_fma_f32 v53, -v43, v41, v23
	v_cmp_ge_f32_e64 s[18:19], 0, v53
	v_add_u32_e32 v53, 1, v41
	v_cndmask_b32_e64 v43, v41, v43, s[18:19]
	v_fma_f32 v41, -v53, v41, v23
	v_cmp_lt_f32_e64 s[18:19], 0, v41
	v_cndmask_b32_e64 v41, v43, v53, s[18:19]
	v_mul_f32_e32 v43, 0x37800000, v41
	v_cndmask_b32_e64 v41, v41, v43, s[4:5]
	v_cmp_class_f32_e64 s[4:5], v23, v58
	v_cndmask_b32_e64 v54, v41, v23, s[4:5]
	v_pk_add_f32 v[56:57], v[54:55], v[44:45] op_sel_hi:[1,0] neg_lo:[0,1] neg_hi:[0,1]
	v_cmp_gt_f32_e64 s[4:5], 0, v56
	v_cmp_gt_f32_e64 s[18:19], 0, v57
	v_pk_fma_f32 v[54:55], v[46:47], v[54:55], 1.0 op_sel_hi:[0,1,0] neg_lo:[1,0,0] neg_hi:[1,0,0]
	v_cndmask_b32_e64 v67, 0, v48, s[18:19]
	v_cndmask_b32_e64 v66, 0, v48, s[4:5]
	v_pk_fma_f32 v[2:3], v[54:55], v[66:67], v[2:3]
	v_pk_fma_f32 v[54:55], v[42:43], v[56:57], 1.0 op_sel_hi:[0,1,0] neg_lo:[1,0,0] neg_hi:[1,0,0]
	v_cmp_lt_f32_e64 s[20:21], v56, v25
	v_cmp_lt_f32_e64 s[22:23], v57, v25
	v_cndmask_b32_e64 v55, v55, 1.0, s[18:19]
	v_cndmask_b32_e64 v54, v54, 1.0, s[4:5]
	;; [unrolled: 1-line block ×4, first 2 shown]
	v_pk_mul_f32 v[54:55], v[66:67], v[54:55]
	v_cmp_lt_f32_e64 s[20:21], v57, v19
	v_cmp_lt_f32_e64 s[22:23], v56, v19
	s_and_b64 s[22:23], s[14:15], s[22:23]
	s_and_b64 s[20:21], s[14:15], s[20:21]
	v_pk_mul_f32 v[54:55], v[26:27], v[54:55] op_sel_hi:[0,1]
	v_pk_fma_f32 v[66:67], v[24:25], v[56:57], 1.0 op_sel_hi:[0,1,0] neg_lo:[1,0,0] neg_hi:[1,0,0]
	v_cndmask_b32_e64 v57, 0, 1.0, s[20:21]
	v_cndmask_b32_e64 v56, 0, 1.0, s[22:23]
	v_cndmask_b32_e64 v55, v55, -|v55|, s[40:41]
	v_cndmask_b32_e64 v54, v54, -|v54|, s[40:41]
	v_pk_mul_f32 v[56:57], v[16:17], v[56:57] op_sel_hi:[0,1]
	v_cndmask_b32_e64 v67, v67, 1.0, s[18:19]
	v_cndmask_b32_e64 v66, v66, 1.0, s[4:5]
	v_pk_fma_f32 v[2:3], v[54:55], s[34:35], v[2:3] op_sel_hi:[1,0,1]
	v_pk_fma_f32 v[2:3], v[66:67], v[56:57], v[2:3]
	v_pk_add_f32 v[66:67], v[110:111], v[20:21] op_sel:[0,1] neg_lo:[0,1] neg_hi:[0,1]
	v_pk_add_f32 v[56:57], v[108:109], v[20:21] op_sel_hi:[1,0] neg_lo:[0,1] neg_hi:[0,1]
	v_pk_mul_f32 v[66:67], v[66:67], v[66:67]
	v_pk_add_f32 v[54:55], v[112:113], v[22:23] op_sel_hi:[1,0] neg_lo:[0,1] neg_hi:[0,1]
	v_pk_fma_f32 v[56:57], v[56:57], v[56:57], v[66:67]
	v_pk_fma_f32 v[54:55], v[54:55], v[54:55], v[56:57]
	v_cmp_gt_f32_e64 s[4:5], s45, v55
	v_mul_f32_e32 v23, 0x4f800000, v55
	v_cndmask_b32_e64 v23, v55, v23, s[4:5]
	v_sqrt_f32_e32 v41, v23
	v_add_u32_e32 v43, -1, v41
	v_fma_f32 v53, -v43, v41, v23
	v_cmp_ge_f32_e64 s[18:19], 0, v53
	v_add_u32_e32 v53, 1, v41
	v_cndmask_b32_e64 v43, v41, v43, s[18:19]
	v_fma_f32 v41, -v53, v41, v23
	v_cmp_lt_f32_e64 s[18:19], 0, v41
	v_cndmask_b32_e64 v41, v43, v53, s[18:19]
	v_mul_f32_e32 v43, 0x37800000, v41
	v_cndmask_b32_e64 v41, v41, v43, s[4:5]
	v_cmp_class_f32_e64 s[4:5], v23, v58
	v_cndmask_b32_e64 v55, v41, v23, s[4:5]
	v_cmp_gt_f32_e64 s[4:5], s45, v54
	v_mul_f32_e32 v23, 0x4f800000, v54
	v_cndmask_b32_e64 v23, v54, v23, s[4:5]
	v_sqrt_f32_e32 v41, v23
	v_add_u32_e32 v43, -1, v41
	v_fma_f32 v53, -v43, v41, v23
	v_cmp_ge_f32_e64 s[18:19], 0, v53
	v_add_u32_e32 v53, 1, v41
	v_cndmask_b32_e64 v43, v41, v43, s[18:19]
	v_fma_f32 v41, -v53, v41, v23
	v_cmp_lt_f32_e64 s[18:19], 0, v41
	v_cndmask_b32_e64 v41, v43, v53, s[18:19]
	v_mul_f32_e32 v43, 0x37800000, v41
	v_cndmask_b32_e64 v41, v41, v43, s[4:5]
	v_cmp_class_f32_e64 s[4:5], v23, v58
	v_cndmask_b32_e64 v54, v41, v23, s[4:5]
	v_pk_add_f32 v[56:57], v[54:55], v[44:45] op_sel_hi:[1,0] neg_lo:[0,1] neg_hi:[0,1]
	v_cmp_gt_f32_e64 s[4:5], 0, v56
	v_cmp_gt_f32_e64 s[18:19], 0, v57
	v_pk_fma_f32 v[54:55], v[46:47], v[54:55], 1.0 op_sel_hi:[0,1,0] neg_lo:[1,0,0] neg_hi:[1,0,0]
	v_cndmask_b32_e64 v67, 0, v48, s[18:19]
	v_cndmask_b32_e64 v66, 0, v48, s[4:5]
	v_pk_fma_f32 v[4:5], v[54:55], v[66:67], v[4:5]
	v_pk_fma_f32 v[54:55], v[42:43], v[56:57], 1.0 op_sel_hi:[0,1,0] neg_lo:[1,0,0] neg_hi:[1,0,0]
	v_cmp_lt_f32_e64 s[20:21], v56, v25
	v_cmp_lt_f32_e64 s[22:23], v57, v25
	v_cndmask_b32_e64 v55, v55, 1.0, s[18:19]
	v_cndmask_b32_e64 v54, v54, 1.0, s[4:5]
	;; [unrolled: 1-line block ×4, first 2 shown]
	v_pk_mul_f32 v[54:55], v[66:67], v[54:55]
	v_cmp_lt_f32_e64 s[20:21], v57, v19
	v_cmp_lt_f32_e64 s[22:23], v56, v19
	s_and_b64 s[22:23], s[14:15], s[22:23]
	s_and_b64 s[20:21], s[14:15], s[20:21]
	v_pk_mul_f32 v[54:55], v[26:27], v[54:55] op_sel_hi:[0,1]
	v_pk_fma_f32 v[66:67], v[24:25], v[56:57], 1.0 op_sel_hi:[0,1,0] neg_lo:[1,0,0] neg_hi:[1,0,0]
	v_cndmask_b32_e64 v57, 0, 1.0, s[20:21]
	v_cndmask_b32_e64 v56, 0, 1.0, s[22:23]
	v_cndmask_b32_e64 v55, v55, -|v55|, s[40:41]
	v_cndmask_b32_e64 v54, v54, -|v54|, s[40:41]
	v_pk_mul_f32 v[56:57], v[16:17], v[56:57] op_sel_hi:[0,1]
	v_cndmask_b32_e64 v67, v67, 1.0, s[18:19]
	v_cndmask_b32_e64 v66, v66, 1.0, s[4:5]
	v_pk_fma_f32 v[4:5], v[54:55], s[34:35], v[4:5] op_sel_hi:[1,0,1]
	v_pk_fma_f32 v[4:5], v[66:67], v[56:57], v[4:5]
	v_pk_add_f32 v[66:67], v[116:117], v[20:21] op_sel:[0,1] neg_lo:[0,1] neg_hi:[0,1]
	v_pk_add_f32 v[56:57], v[114:115], v[20:21] op_sel_hi:[1,0] neg_lo:[0,1] neg_hi:[0,1]
	v_pk_mul_f32 v[66:67], v[66:67], v[66:67]
	v_pk_add_f32 v[54:55], v[118:119], v[22:23] op_sel_hi:[1,0] neg_lo:[0,1] neg_hi:[0,1]
	v_pk_fma_f32 v[56:57], v[56:57], v[56:57], v[66:67]
	v_pk_fma_f32 v[54:55], v[54:55], v[54:55], v[56:57]
	v_cmp_gt_f32_e64 s[4:5], s45, v55
	v_mul_f32_e32 v23, 0x4f800000, v55
	v_cndmask_b32_e64 v23, v55, v23, s[4:5]
	v_sqrt_f32_e32 v41, v23
	v_add_u32_e32 v43, -1, v41
	v_fma_f32 v53, -v43, v41, v23
	v_cmp_ge_f32_e64 s[18:19], 0, v53
	v_add_u32_e32 v53, 1, v41
	v_cndmask_b32_e64 v43, v41, v43, s[18:19]
	v_fma_f32 v41, -v53, v41, v23
	v_cmp_lt_f32_e64 s[18:19], 0, v41
	v_cndmask_b32_e64 v41, v43, v53, s[18:19]
	v_mul_f32_e32 v43, 0x37800000, v41
	v_cndmask_b32_e64 v41, v41, v43, s[4:5]
	v_cmp_class_f32_e64 s[4:5], v23, v58
	v_cndmask_b32_e64 v55, v41, v23, s[4:5]
	v_cmp_gt_f32_e64 s[4:5], s45, v54
	v_mul_f32_e32 v23, 0x4f800000, v54
	v_cndmask_b32_e64 v23, v54, v23, s[4:5]
	v_sqrt_f32_e32 v41, v23
	v_add_u32_e32 v43, -1, v41
	v_fma_f32 v53, -v43, v41, v23
	v_cmp_ge_f32_e64 s[18:19], 0, v53
	v_add_u32_e32 v53, 1, v41
	v_cndmask_b32_e64 v43, v41, v43, s[18:19]
	v_fma_f32 v41, -v53, v41, v23
	v_cmp_lt_f32_e64 s[18:19], 0, v41
	v_cndmask_b32_e64 v41, v43, v53, s[18:19]
	v_mul_f32_e32 v43, 0x37800000, v41
	v_cndmask_b32_e64 v41, v41, v43, s[4:5]
	v_cmp_class_f32_e64 s[4:5], v23, v58
	v_cndmask_b32_e64 v54, v41, v23, s[4:5]
	v_pk_add_f32 v[56:57], v[54:55], v[44:45] op_sel_hi:[1,0] neg_lo:[0,1] neg_hi:[0,1]
	v_cmp_gt_f32_e64 s[4:5], 0, v56
	v_cmp_gt_f32_e64 s[18:19], 0, v57
	v_pk_fma_f32 v[54:55], v[46:47], v[54:55], 1.0 op_sel_hi:[0,1,0] neg_lo:[1,0,0] neg_hi:[1,0,0]
	v_cndmask_b32_e64 v67, 0, v48, s[18:19]
	v_cndmask_b32_e64 v66, 0, v48, s[4:5]
	v_pk_fma_f32 v[6:7], v[54:55], v[66:67], v[6:7]
	v_pk_fma_f32 v[54:55], v[42:43], v[56:57], 1.0 op_sel_hi:[0,1,0] neg_lo:[1,0,0] neg_hi:[1,0,0]
	v_cmp_lt_f32_e64 s[20:21], v56, v25
	v_cmp_lt_f32_e64 s[22:23], v57, v25
	v_cndmask_b32_e64 v55, v55, 1.0, s[18:19]
	v_cndmask_b32_e64 v54, v54, 1.0, s[4:5]
	;; [unrolled: 1-line block ×4, first 2 shown]
	v_pk_mul_f32 v[54:55], v[66:67], v[54:55]
	v_cmp_lt_f32_e64 s[20:21], v57, v19
	v_cmp_lt_f32_e64 s[22:23], v56, v19
	s_and_b64 s[22:23], s[14:15], s[22:23]
	s_and_b64 s[20:21], s[14:15], s[20:21]
	v_pk_mul_f32 v[54:55], v[26:27], v[54:55] op_sel_hi:[0,1]
	v_pk_fma_f32 v[66:67], v[24:25], v[56:57], 1.0 op_sel_hi:[0,1,0] neg_lo:[1,0,0] neg_hi:[1,0,0]
	v_cndmask_b32_e64 v57, 0, 1.0, s[20:21]
	v_cndmask_b32_e64 v56, 0, 1.0, s[22:23]
	v_cndmask_b32_e64 v55, v55, -|v55|, s[40:41]
	v_cndmask_b32_e64 v54, v54, -|v54|, s[40:41]
	v_pk_mul_f32 v[56:57], v[16:17], v[56:57] op_sel_hi:[0,1]
	v_cndmask_b32_e64 v67, v67, 1.0, s[18:19]
	v_cndmask_b32_e64 v66, v66, 1.0, s[4:5]
	v_pk_fma_f32 v[6:7], v[54:55], s[34:35], v[6:7] op_sel_hi:[1,0,1]
	v_pk_fma_f32 v[6:7], v[66:67], v[56:57], v[6:7]
	v_pk_add_f32 v[66:67], v[122:123], v[20:21] op_sel:[0,1] neg_lo:[0,1] neg_hi:[0,1]
	v_pk_add_f32 v[56:57], v[120:121], v[20:21] op_sel_hi:[1,0] neg_lo:[0,1] neg_hi:[0,1]
	v_pk_mul_f32 v[66:67], v[66:67], v[66:67]
	v_pk_add_f32 v[54:55], v[124:125], v[22:23] op_sel_hi:[1,0] neg_lo:[0,1] neg_hi:[0,1]
	v_pk_fma_f32 v[56:57], v[56:57], v[56:57], v[66:67]
	v_pk_fma_f32 v[54:55], v[54:55], v[54:55], v[56:57]
	v_cmp_gt_f32_e64 s[4:5], s45, v55
	v_mul_f32_e32 v23, 0x4f800000, v55
	v_cndmask_b32_e64 v23, v55, v23, s[4:5]
	v_sqrt_f32_e32 v41, v23
	v_add_u32_e32 v43, -1, v41
	v_fma_f32 v53, -v43, v41, v23
	v_cmp_ge_f32_e64 s[18:19], 0, v53
	v_add_u32_e32 v53, 1, v41
	v_cndmask_b32_e64 v43, v41, v43, s[18:19]
	v_fma_f32 v41, -v53, v41, v23
	v_cmp_lt_f32_e64 s[18:19], 0, v41
	v_cndmask_b32_e64 v41, v43, v53, s[18:19]
	v_mul_f32_e32 v43, 0x37800000, v41
	v_cndmask_b32_e64 v41, v41, v43, s[4:5]
	v_cmp_class_f32_e64 s[4:5], v23, v58
	v_cndmask_b32_e64 v55, v41, v23, s[4:5]
	v_cmp_gt_f32_e64 s[4:5], s45, v54
	v_mul_f32_e32 v23, 0x4f800000, v54
	v_cndmask_b32_e64 v23, v54, v23, s[4:5]
	v_sqrt_f32_e32 v41, v23
	v_add_u32_e32 v43, -1, v41
	v_fma_f32 v53, -v43, v41, v23
	v_cmp_ge_f32_e64 s[18:19], 0, v53
	v_add_u32_e32 v53, 1, v41
	v_cndmask_b32_e64 v43, v41, v43, s[18:19]
	v_fma_f32 v41, -v53, v41, v23
	v_cmp_lt_f32_e64 s[18:19], 0, v41
	v_cndmask_b32_e64 v41, v43, v53, s[18:19]
	v_mul_f32_e32 v43, 0x37800000, v41
	v_cndmask_b32_e64 v41, v41, v43, s[4:5]
	v_cmp_class_f32_e64 s[4:5], v23, v58
	v_cndmask_b32_e64 v54, v41, v23, s[4:5]
	v_pk_add_f32 v[56:57], v[54:55], v[44:45] op_sel_hi:[1,0] neg_lo:[0,1] neg_hi:[0,1]
	v_cmp_gt_f32_e64 s[4:5], 0, v56
	v_cmp_gt_f32_e64 s[18:19], 0, v57
	v_pk_fma_f32 v[54:55], v[46:47], v[54:55], 1.0 op_sel_hi:[0,1,0] neg_lo:[1,0,0] neg_hi:[1,0,0]
	v_cndmask_b32_e64 v67, 0, v48, s[18:19]
	v_cndmask_b32_e64 v66, 0, v48, s[4:5]
	v_pk_fma_f32 v[8:9], v[54:55], v[66:67], v[8:9]
	v_pk_fma_f32 v[54:55], v[42:43], v[56:57], 1.0 op_sel_hi:[0,1,0] neg_lo:[1,0,0] neg_hi:[1,0,0]
	v_cmp_lt_f32_e64 s[20:21], v56, v25
	v_cmp_lt_f32_e64 s[22:23], v57, v25
	v_cndmask_b32_e64 v55, v55, 1.0, s[18:19]
	v_cndmask_b32_e64 v54, v54, 1.0, s[4:5]
	;; [unrolled: 1-line block ×4, first 2 shown]
	v_pk_mul_f32 v[54:55], v[66:67], v[54:55]
	v_cmp_lt_f32_e64 s[20:21], v57, v19
	v_cmp_lt_f32_e64 s[22:23], v56, v19
	s_and_b64 s[22:23], s[14:15], s[22:23]
	s_and_b64 s[20:21], s[14:15], s[20:21]
	v_pk_mul_f32 v[54:55], v[26:27], v[54:55] op_sel_hi:[0,1]
	v_pk_fma_f32 v[66:67], v[24:25], v[56:57], 1.0 op_sel_hi:[0,1,0] neg_lo:[1,0,0] neg_hi:[1,0,0]
	v_cndmask_b32_e64 v57, 0, 1.0, s[20:21]
	v_cndmask_b32_e64 v56, 0, 1.0, s[22:23]
	v_cndmask_b32_e64 v55, v55, -|v55|, s[40:41]
	v_cndmask_b32_e64 v54, v54, -|v54|, s[40:41]
	v_pk_mul_f32 v[56:57], v[16:17], v[56:57] op_sel_hi:[0,1]
	v_cndmask_b32_e64 v67, v67, 1.0, s[18:19]
	v_cndmask_b32_e64 v66, v66, 1.0, s[4:5]
	v_pk_fma_f32 v[8:9], v[54:55], s[34:35], v[8:9] op_sel_hi:[1,0,1]
	v_pk_fma_f32 v[8:9], v[66:67], v[56:57], v[8:9]
	v_pk_add_f32 v[66:67], v[28:29], v[20:21] op_sel:[0,1] neg_lo:[0,1] neg_hi:[0,1]
	v_pk_add_f32 v[56:57], v[126:127], v[20:21] op_sel_hi:[1,0] neg_lo:[0,1] neg_hi:[0,1]
	v_pk_mul_f32 v[66:67], v[66:67], v[66:67]
	v_pk_add_f32 v[54:55], v[30:31], v[22:23] op_sel_hi:[1,0] neg_lo:[0,1] neg_hi:[0,1]
	v_pk_fma_f32 v[56:57], v[56:57], v[56:57], v[66:67]
	v_pk_fma_f32 v[54:55], v[54:55], v[54:55], v[56:57]
	v_cmp_gt_f32_e64 s[4:5], s45, v55
	v_mul_f32_e32 v23, 0x4f800000, v55
	v_cndmask_b32_e64 v23, v55, v23, s[4:5]
	v_sqrt_f32_e32 v41, v23
	v_add_u32_e32 v43, -1, v41
	v_fma_f32 v53, -v43, v41, v23
	v_cmp_ge_f32_e64 s[18:19], 0, v53
	v_add_u32_e32 v53, 1, v41
	v_cndmask_b32_e64 v43, v41, v43, s[18:19]
	v_fma_f32 v41, -v53, v41, v23
	v_cmp_lt_f32_e64 s[18:19], 0, v41
	v_cndmask_b32_e64 v41, v43, v53, s[18:19]
	v_mul_f32_e32 v43, 0x37800000, v41
	v_cndmask_b32_e64 v41, v41, v43, s[4:5]
	v_cmp_class_f32_e64 s[4:5], v23, v58
	v_cndmask_b32_e64 v55, v41, v23, s[4:5]
	v_cmp_gt_f32_e64 s[4:5], s45, v54
	v_mul_f32_e32 v23, 0x4f800000, v54
	v_cndmask_b32_e64 v23, v54, v23, s[4:5]
	v_sqrt_f32_e32 v41, v23
	v_add_u32_e32 v43, -1, v41
	v_fma_f32 v53, -v43, v41, v23
	v_cmp_ge_f32_e64 s[18:19], 0, v53
	v_add_u32_e32 v53, 1, v41
	v_cndmask_b32_e64 v43, v41, v43, s[18:19]
	v_fma_f32 v41, -v53, v41, v23
	v_cmp_lt_f32_e64 s[18:19], 0, v41
	v_cndmask_b32_e64 v41, v43, v53, s[18:19]
	v_mul_f32_e32 v43, 0x37800000, v41
	v_cndmask_b32_e64 v41, v41, v43, s[4:5]
	v_cmp_class_f32_e64 s[4:5], v23, v58
	v_cndmask_b32_e64 v54, v41, v23, s[4:5]
	v_pk_add_f32 v[56:57], v[54:55], v[44:45] op_sel_hi:[1,0] neg_lo:[0,1] neg_hi:[0,1]
	v_cmp_gt_f32_e64 s[4:5], 0, v56
	v_cmp_gt_f32_e64 s[18:19], 0, v57
	v_pk_fma_f32 v[54:55], v[46:47], v[54:55], 1.0 op_sel_hi:[0,1,0] neg_lo:[1,0,0] neg_hi:[1,0,0]
	v_cndmask_b32_e64 v67, 0, v48, s[18:19]
	v_cndmask_b32_e64 v66, 0, v48, s[4:5]
	v_pk_fma_f32 v[10:11], v[54:55], v[66:67], v[10:11]
	v_pk_fma_f32 v[54:55], v[42:43], v[56:57], 1.0 op_sel_hi:[0,1,0] neg_lo:[1,0,0] neg_hi:[1,0,0]
	v_cmp_lt_f32_e64 s[20:21], v56, v25
	v_cmp_lt_f32_e64 s[22:23], v57, v25
	v_cndmask_b32_e64 v55, v55, 1.0, s[18:19]
	v_cndmask_b32_e64 v54, v54, 1.0, s[4:5]
	v_cndmask_b32_e64 v67, 0, 1.0, s[22:23]
	v_cndmask_b32_e64 v66, 0, 1.0, s[20:21]
	v_pk_mul_f32 v[54:55], v[66:67], v[54:55]
	v_pk_mul_f32 v[54:55], v[26:27], v[54:55] op_sel_hi:[0,1]
	v_cndmask_b32_e64 v55, v55, -|v55|, s[40:41]
	v_cndmask_b32_e64 v54, v54, -|v54|, s[40:41]
	v_pk_fma_f32 v[10:11], v[54:55], s[34:35], v[10:11] op_sel_hi:[1,0,1]
	v_pk_add_f32 v[54:55], v[32:33], v[20:21] op_sel_hi:[1,0] neg_lo:[0,1] neg_hi:[0,1]
	v_pk_add_f32 v[20:21], v[34:35], v[20:21] op_sel:[0,1] neg_lo:[0,1] neg_hi:[0,1]
	v_pk_mul_f32 v[20:21], v[20:21], v[20:21]
	v_pk_add_f32 v[22:23], v[36:37], v[22:23] op_sel_hi:[1,0] neg_lo:[0,1] neg_hi:[0,1]
	v_pk_fma_f32 v[20:21], v[54:55], v[54:55], v[20:21]
	v_pk_fma_f32 v[66:67], v[24:25], v[56:57], 1.0 op_sel_hi:[0,1,0] neg_lo:[1,0,0] neg_hi:[1,0,0]
	v_pk_fma_f32 v[20:21], v[22:23], v[22:23], v[20:21]
	v_cndmask_b32_e64 v66, v66, 1.0, s[4:5]
	v_cmp_gt_f32_e64 s[4:5], s45, v21
	v_mul_f32_e32 v22, 0x4f800000, v21
	v_cndmask_b32_e64 v21, v21, v22, s[4:5]
	v_sqrt_f32_e32 v22, v21
	v_cndmask_b32_e64 v67, v67, 1.0, s[18:19]
	v_cmp_lt_f32_e64 s[20:21], v57, v19
	v_cmp_lt_f32_e64 s[22:23], v56, v19
	v_add_u32_e32 v23, -1, v22
	v_fma_f32 v41, -v23, v22, v21
	v_cmp_ge_f32_e64 s[18:19], 0, v41
	v_add_u32_e32 v41, 1, v22
	v_cndmask_b32_e64 v23, v22, v23, s[18:19]
	v_fma_f32 v22, -v41, v22, v21
	v_cmp_lt_f32_e64 s[18:19], 0, v22
	v_cndmask_b32_e64 v22, v23, v41, s[18:19]
	v_mul_f32_e32 v23, 0x37800000, v22
	v_cndmask_b32_e64 v22, v22, v23, s[4:5]
	v_cmp_class_f32_e64 s[4:5], v21, v58
	v_cndmask_b32_e64 v21, v22, v21, s[4:5]
	v_cmp_gt_f32_e64 s[4:5], s45, v20
	v_mul_f32_e32 v22, 0x4f800000, v20
	v_cndmask_b32_e64 v20, v20, v22, s[4:5]
	v_sqrt_f32_e32 v22, v20
	s_and_b64 s[22:23], s[14:15], s[22:23]
	s_and_b64 s[20:21], s[14:15], s[20:21]
	v_cndmask_b32_e64 v57, 0, 1.0, s[20:21]
	v_add_u32_e32 v23, -1, v22
	v_fma_f32 v41, -v23, v22, v20
	v_cmp_ge_f32_e64 s[18:19], 0, v41
	v_add_u32_e32 v41, 1, v22
	v_cndmask_b32_e64 v23, v22, v23, s[18:19]
	v_fma_f32 v22, -v41, v22, v20
	v_cmp_lt_f32_e64 s[18:19], 0, v22
	v_cndmask_b32_e64 v22, v23, v41, s[18:19]
	v_mul_f32_e32 v23, 0x37800000, v22
	v_cndmask_b32_e64 v22, v22, v23, s[4:5]
	v_cmp_class_f32_e64 s[4:5], v20, v58
	v_cndmask_b32_e64 v20, v22, v20, s[4:5]
	v_pk_add_f32 v[22:23], v[20:21], v[44:45] op_sel_hi:[1,0] neg_lo:[0,1] neg_hi:[0,1]
	v_cmp_gt_f32_e64 s[4:5], 0, v22
	v_cmp_gt_f32_e64 s[18:19], 0, v23
	v_pk_fma_f32 v[20:21], v[46:47], v[20:21], 1.0 op_sel_hi:[0,1,0] neg_lo:[1,0,0] neg_hi:[1,0,0]
	v_cndmask_b32_e64 v55, 0, v48, s[18:19]
	v_cndmask_b32_e64 v54, 0, v48, s[4:5]
	v_cndmask_b32_e64 v56, 0, 1.0, s[22:23]
	v_pk_fma_f32 v[12:13], v[20:21], v[54:55], v[12:13]
	v_pk_fma_f32 v[20:21], v[42:43], v[22:23], 1.0 op_sel_hi:[0,1,0] neg_lo:[1,0,0] neg_hi:[1,0,0]
	v_cmp_lt_f32_e64 s[20:21], v22, v25
	v_cmp_lt_f32_e64 s[22:23], v23, v25
	v_cndmask_b32_e64 v21, v21, 1.0, s[18:19]
	v_cndmask_b32_e64 v20, v20, 1.0, s[4:5]
	;; [unrolled: 1-line block ×4, first 2 shown]
	v_pk_mul_f32 v[20:21], v[42:43], v[20:21]
	v_pk_mul_f32 v[20:21], v[26:27], v[20:21] op_sel_hi:[0,1]
	v_cndmask_b32_e64 v21, v21, -|v21|, s[40:41]
	v_cndmask_b32_e64 v20, v20, -|v20|, s[40:41]
	v_pk_fma_f32 v[12:13], v[20:21], s[34:35], v[12:13] op_sel_hi:[1,0,1]
	v_mul_f32_e32 v20, v26, v51
	v_pk_fma_f32 v[42:43], v[24:25], v[22:23], 1.0 op_sel_hi:[0,1,0] neg_lo:[1,0,0] neg_hi:[1,0,0]
	v_cndmask_b32_e64 v20, v20, -|v20|, s[40:41]
	v_cmp_lt_f32_e64 s[20:21], v23, v19
	v_cmp_lt_f32_e64 s[22:23], v22, v19
	v_cndmask_b32_e64 v42, v42, 1.0, s[4:5]
	v_fmac_f32_e32 v14, 0x42340000, v20
	v_mul_f32_e32 v20, v26, v27
	v_cmp_lt_f32_e64 s[4:5], v52, v19
	s_and_b64 s[22:23], s[14:15], s[22:23]
	s_and_b64 s[20:21], s[14:15], s[20:21]
	v_cndmask_b32_e64 v20, v20, -|v20|, s[40:41]
	s_and_b64 s[4:5], s[14:15], s[4:5]
	v_cndmask_b32_e64 v23, 0, 1.0, s[20:21]
	v_cndmask_b32_e64 v22, 0, 1.0, s[22:23]
	v_fmac_f32_e32 v15, 0x42340000, v20
	v_fma_f32 v20, -v24, v52, 1.0
	v_cndmask_b32_e64 v19, 0, 1.0, s[4:5]
	s_add_u32 s36, s36, 16
	v_pk_mul_f32 v[56:57], v[16:17], v[56:57] op_sel_hi:[0,1]
	v_pk_mul_f32 v[22:23], v[16:17], v[22:23] op_sel_hi:[0,1]
	v_cndmask_b32_e64 v43, v43, 1.0, s[18:19]
	v_mul_f32_e32 v16, v16, v19
	v_cndmask_b32_e64 v19, v20, 1.0, vcc
	s_addc_u32 s37, s37, 0
	s_add_i32 s46, s46, -1
	v_pk_fma_f32 v[10:11], v[66:67], v[56:57], v[10:11]
	v_pk_fma_f32 v[12:13], v[42:43], v[22:23], v[12:13]
	v_fmac_f32_e32 v14, v65, v64
	v_fmac_f32_e32 v15, v19, v16
	s_cmp_lg_u32 s46, 0
	s_cbranch_scc1 .LBB4_28
; %bb.29:                               ;   in Loop: Header=BB4_27 Depth=1
	s_add_i32 s30, s30, 1
	s_cmp_lg_u32 s30, s42
	s_cbranch_scc1 .LBB4_27
; %bb.30:
	s_and_saveexec_b64 s[4:5], s[16:17]
	s_cbranch_execz .LBB4_32
; %bb.31:
	buffer_load_dword v20, off, s[0:3], 0 offset:1420 ; 4-byte Folded Reload
	buffer_load_dword v21, off, s[0:3], 0 offset:1424 ; 4-byte Folded Reload
	s_waitcnt vmcnt(0)
	v_mov_b32_e32 v21, 0
	v_mov_b32_e32 v18, s25
	v_mul_f32_e32 v0, 0.5, v0
	v_mul_f32_e32 v2, 0.5, v2
	v_lshlrev_b64 v[16:17], 2, v[20:21]
	v_add_co_u32_e32 v16, vcc, s24, v16
	v_addc_co_u32_e32 v17, vcc, v18, v17, vcc
	v_add_u32_e32 v20, s33, v20
	global_store_dword v[16:17], v0, off
	v_mul_f32_e32 v16, 0.5, v1
	v_lshlrev_b64 v[0:1], 2, v[20:21]
	v_mov_b32_e32 v17, s25
	v_add_co_u32_e32 v0, vcc, s24, v0
	v_addc_co_u32_e32 v1, vcc, v17, v1, vcc
	v_add_u32_e32 v20, s33, v20
	global_store_dword v[0:1], v16, off
	v_lshlrev_b64 v[0:1], 2, v[20:21]
	v_mov_b32_e32 v16, s25
	v_add_co_u32_e32 v0, vcc, s24, v0
	v_addc_co_u32_e32 v1, vcc, v16, v1, vcc
	v_add_u32_e32 v20, s33, v20
	global_store_dword v[0:1], v2, off
	v_lshlrev_b64 v[0:1], 2, v[20:21]
	v_mul_f32_e32 v2, 0.5, v3
	v_mov_b32_e32 v3, s25
	v_add_co_u32_e32 v0, vcc, s24, v0
	v_addc_co_u32_e32 v1, vcc, v3, v1, vcc
	v_add_u32_e32 v20, s33, v20
	global_store_dword v[0:1], v2, off
	v_lshlrev_b64 v[0:1], 2, v[20:21]
	v_add_co_u32_e32 v0, vcc, s24, v0
	v_mul_f32_e32 v2, 0.5, v4
	v_addc_co_u32_e32 v1, vcc, v3, v1, vcc
	v_add_u32_e32 v20, s33, v20
	global_store_dword v[0:1], v2, off
	v_lshlrev_b64 v[0:1], 2, v[20:21]
	v_add_co_u32_e32 v0, vcc, s24, v0
	v_mul_f32_e32 v2, 0.5, v5
	;; [unrolled: 6-line block ×12, first 2 shown]
	v_addc_co_u32_e32 v1, vcc, v3, v1, vcc
	global_store_dword v[0:1], v2, off
.LBB4_32:
	s_endpgm
	.section	.rodata,"a",@progbits
	.p2align	6, 0x0
	.amdhsa_kernel _ZL11fasten_mainILm16EEviiPK4AtomS2_PKfS4_S4_S4_S4_S4_PfPK8FFParamsi
		.amdhsa_group_segment_fixed_size 0
		.amdhsa_private_segment_fixed_size 1440
		.amdhsa_kernarg_size 352
		.amdhsa_user_sgpr_count 8
		.amdhsa_user_sgpr_private_segment_buffer 1
		.amdhsa_user_sgpr_dispatch_ptr 0
		.amdhsa_user_sgpr_queue_ptr 0
		.amdhsa_user_sgpr_kernarg_segment_ptr 1
		.amdhsa_user_sgpr_dispatch_id 0
		.amdhsa_user_sgpr_flat_scratch_init 1
		.amdhsa_user_sgpr_kernarg_preload_length 0
		.amdhsa_user_sgpr_kernarg_preload_offset 0
		.amdhsa_user_sgpr_private_segment_size 0
		.amdhsa_uses_dynamic_stack 0
		.amdhsa_system_sgpr_private_segment_wavefront_offset 1
		.amdhsa_system_sgpr_workgroup_id_x 1
		.amdhsa_system_sgpr_workgroup_id_y 0
		.amdhsa_system_sgpr_workgroup_id_z 0
		.amdhsa_system_sgpr_workgroup_info 0
		.amdhsa_system_vgpr_workitem_id 0
		.amdhsa_next_free_vgpr 128
		.amdhsa_next_free_sgpr 52
		.amdhsa_accum_offset 128
		.amdhsa_reserve_vcc 1
		.amdhsa_reserve_flat_scratch 0
		.amdhsa_float_round_mode_32 0
		.amdhsa_float_round_mode_16_64 0
		.amdhsa_float_denorm_mode_32 3
		.amdhsa_float_denorm_mode_16_64 3
		.amdhsa_dx10_clamp 1
		.amdhsa_ieee_mode 1
		.amdhsa_fp16_overflow 0
		.amdhsa_tg_split 0
		.amdhsa_exception_fp_ieee_invalid_op 0
		.amdhsa_exception_fp_denorm_src 0
		.amdhsa_exception_fp_ieee_div_zero 0
		.amdhsa_exception_fp_ieee_overflow 0
		.amdhsa_exception_fp_ieee_underflow 0
		.amdhsa_exception_fp_ieee_inexact 0
		.amdhsa_exception_int_div_zero 0
	.end_amdhsa_kernel
	.section	.text._ZL11fasten_mainILm16EEviiPK4AtomS2_PKfS4_S4_S4_S4_S4_PfPK8FFParamsi,"axG",@progbits,_ZL11fasten_mainILm16EEviiPK4AtomS2_PKfS4_S4_S4_S4_S4_PfPK8FFParamsi,comdat
.Lfunc_end4:
	.size	_ZL11fasten_mainILm16EEviiPK4AtomS2_PKfS4_S4_S4_S4_S4_PfPK8FFParamsi, .Lfunc_end4-_ZL11fasten_mainILm16EEviiPK4AtomS2_PKfS4_S4_S4_S4_S4_PfPK8FFParamsi
                                        ; -- End function
	.section	.AMDGPU.csdata,"",@progbits
; Kernel info:
; codeLenInByte = 16040
; NumSgprs: 56
; NumVgprs: 128
; NumAgprs: 0
; TotalNumVgprs: 128
; ScratchSize: 1440
; MemoryBound: 0
; FloatMode: 240
; IeeeMode: 1
; LDSByteSize: 0 bytes/workgroup (compile time only)
; SGPRBlocks: 6
; VGPRBlocks: 15
; NumSGPRsForWavesPerEU: 56
; NumVGPRsForWavesPerEU: 128
; AccumOffset: 128
; Occupancy: 4
; WaveLimiterHint : 1
; COMPUTE_PGM_RSRC2:SCRATCH_EN: 1
; COMPUTE_PGM_RSRC2:USER_SGPR: 8
; COMPUTE_PGM_RSRC2:TRAP_HANDLER: 0
; COMPUTE_PGM_RSRC2:TGID_X_EN: 1
; COMPUTE_PGM_RSRC2:TGID_Y_EN: 0
; COMPUTE_PGM_RSRC2:TGID_Z_EN: 0
; COMPUTE_PGM_RSRC2:TIDIG_COMP_CNT: 0
; COMPUTE_PGM_RSRC3_GFX90A:ACCUM_OFFSET: 31
; COMPUTE_PGM_RSRC3_GFX90A:TG_SPLIT: 0
	.section	.text._ZL11fasten_mainILm32EEviiPK4AtomS2_PKfS4_S4_S4_S4_S4_PfPK8FFParamsi,"axG",@progbits,_ZL11fasten_mainILm32EEviiPK4AtomS2_PKfS4_S4_S4_S4_S4_PfPK8FFParamsi,comdat
	.globl	_ZL11fasten_mainILm32EEviiPK4AtomS2_PKfS4_S4_S4_S4_S4_PfPK8FFParamsi ; -- Begin function _ZL11fasten_mainILm32EEviiPK4AtomS2_PKfS4_S4_S4_S4_S4_PfPK8FFParamsi
	.p2align	8
	.type	_ZL11fasten_mainILm32EEviiPK4AtomS2_PKfS4_S4_S4_S4_S4_PfPK8FFParamsi,@function
_ZL11fasten_mainILm32EEviiPK4AtomS2_PKfS4_S4_S4_S4_S4_PfPK8FFParamsi: ; @_ZL11fasten_mainILm32EEviiPK4AtomS2_PKfS4_S4_S4_S4_S4_PfPK8FFParamsi
; %bb.0:
	s_load_dword s6, s[4:5], 0x6c
	s_load_dword s7, s[4:5], 0x58
	s_load_dwordx16 s[36:51], s[4:5], 0x8
	s_add_u32 s0, s0, s9
	s_addc_u32 s1, s1, 0
	s_waitcnt lgkmcnt(0)
	s_and_b32 s31, s6, 0xffff
	s_mul_i32 s8, s8, s31
	v_lshl_add_u32 v4, s8, 5, v0
	s_sub_i32 s6, s7, 32
	v_mov_b32_e32 v0, s6
	v_cmp_gt_i32_e64 s[16:17], s7, v4
	v_mov_b32_e32 v2, v4
	v_cndmask_b32_e64 v0, v0, v4, s[16:17]
	buffer_store_dword v2, off, s[0:3], 0 offset:3000 ; 4-byte Folded Spill
	s_nop 0
	buffer_store_dword v3, off, s[0:3], 0 offset:3004 ; 4-byte Folded Spill
	v_ashrrev_i32_e32 v1, 31, v0
	v_lshlrev_b64 v[0:1], 2, v[0:1]
	s_lshl_b32 s18, s31, 2
	s_mov_b32 s19, 0
	v_mov_b32_e32 v8, 0x80
	s_brev_b32 s20, 18
	s_mov_b32 s21, 0xfe5163ab
	s_mov_b32 s22, 0x3c439041
	;; [unrolled: 1-line block ×10, first 2 shown]
	v_mov_b32_e32 v9, 0xbe2aaa9d
	v_mov_b32_e32 v10, 0x3d2aabf7
	;; [unrolled: 1-line block ×4, first 2 shown]
	s_movk_i32 s33, 0x1f8
	v_mov_b32_e32 v12, 0
	v_not_b32_e32 v13, 63
	v_not_b32_e32 v14, 31
	v_mov_b32_e32 v15, 0x7fc00000
	s_branch .LBB5_2
.LBB5_1:                                ;   in Loop: Header=BB5_2 Depth=1
	s_or_b64 exec, exec, s[6:7]
	v_mul_f32_e32 v29, v28, v28
	v_mov_b32_e32 v30, 0x3c0881c4
	v_fmac_f32_e32 v30, 0xb94c1982, v29
	v_fma_f32 v30, v29, v30, v9
	v_mul_f32_e32 v30, v29, v30
	v_fmac_f32_e32 v28, v28, v30
	v_mov_b32_e32 v30, 0xbab64f3b
	v_fmac_f32_e32 v30, 0x37d75334, v29
	v_fma_f32 v30, v29, v30, v10
	v_fma_f32 v30, v29, v30, v11
	v_fma_f32 v29, v29, v30, 1.0
	v_and_b32_e32 v30, 1, v27
	v_lshlrev_b32_e32 v27, 30, v27
	v_cmp_eq_u32_e32 vcc, 0, v30
	v_and_b32_e32 v27, 0x80000000, v27
	v_xor_b32_e32 v25, v25, v4
	v_cndmask_b32_e32 v28, v29, v28, vcc
	v_xor_b32_e32 v25, v25, v27
	v_xor_b32_e32 v25, v25, v28
	v_cmp_class_f32_e64 vcc, v4, s33
	v_cndmask_b32_e32 v4, v15, v25, vcc
	v_mul_f32_e32 v25, v24, v24
	v_mov_b32_e32 v27, 0x3c0881c4
	v_fmac_f32_e32 v27, 0xb94c1982, v25
	v_fma_f32 v27, v25, v27, v9
	v_mul_f32_e32 v27, v25, v27
	v_fmac_f32_e32 v24, v24, v27
	v_mov_b32_e32 v27, 0xbab64f3b
	v_fmac_f32_e32 v27, 0x37d75334, v25
	v_fma_f32 v27, v25, v27, v10
	v_fma_f32 v27, v25, v27, v11
	v_fma_f32 v25, v25, v27, 1.0
	v_and_b32_e32 v27, 1, v6
	v_cmp_eq_u32_e64 s[6:7], 0, v27
	v_lshlrev_b32_e32 v6, 30, v6
	v_cndmask_b32_e64 v24, -v24, v25, s[6:7]
	v_and_b32_e32 v6, 0x80000000, v6
	v_xor_b32_e32 v6, v6, v24
	v_mul_f32_e32 v24, v23, v23
	v_mov_b32_e32 v25, 0x3c0881c4
	v_fmac_f32_e32 v25, 0xb94c1982, v24
	v_fma_f32 v25, v24, v25, v9
	v_mul_f32_e32 v25, v24, v25
	v_fmac_f32_e32 v23, v23, v25
	v_mov_b32_e32 v25, 0xbab64f3b
	v_fmac_f32_e32 v25, 0x37d75334, v24
	v_fma_f32 v25, v24, v25, v10
	v_fma_f32 v25, v24, v25, v11
	v_fma_f32 v24, v24, v25, 1.0
	v_and_b32_e32 v25, 1, v22
	v_lshlrev_b32_e32 v22, 30, v22
	v_cmp_class_f32_e64 s[6:7], v20, s33
	v_cmp_eq_u32_e64 s[8:9], 0, v25
	v_and_b32_e32 v22, 0x80000000, v22
	v_xor_b32_e32 v20, v21, v20
	v_cndmask_b32_e64 v23, v24, v23, s[8:9]
	v_xor_b32_e32 v20, v20, v22
	v_xor_b32_e32 v20, v20, v23
	v_cndmask_b32_e64 v6, v15, v6, s[6:7]
	v_cndmask_b32_e64 v24, v15, v20, s[6:7]
	v_mov_b32_e32 v21, s47
	v_add_co_u32_e64 v20, s[6:7], s46, v0
	v_addc_co_u32_e64 v21, s[6:7], v21, v1, s[6:7]
	v_mul_f32_e32 v22, v19, v19
	global_load_dword v25, v[20:21], off
	v_mov_b32_e32 v20, 0x3c0881c4
	v_fmac_f32_e32 v20, 0xb94c1982, v22
	v_fma_f32 v20, v22, v20, v9
	v_mul_f32_e32 v23, v22, v20
	v_mov_b32_e32 v21, s49
	v_add_co_u32_e64 v20, s[6:7], s48, v0
	v_addc_co_u32_e64 v21, s[6:7], v21, v1, s[6:7]
	global_load_dword v27, v[20:21], off
	v_mov_b32_e32 v21, s51
	v_add_co_u32_e64 v20, s[6:7], s50, v0
	v_addc_co_u32_e64 v21, s[6:7], v21, v1, s[6:7]
	global_load_dword v28, v[20:21], off
	v_mov_b32_e32 v20, 0xbab64f3b
	v_fmac_f32_e32 v20, 0x37d75334, v22
	v_fma_f32 v20, v22, v20, v10
	v_fma_f32 v20, v22, v20, v11
	v_and_b32_e32 v21, 1, v18
	v_fmac_f32_e32 v19, v19, v23
	v_fma_f32 v20, v22, v20, 1.0
	v_cmp_eq_u32_e64 s[6:7], 0, v21
	v_lshlrev_b32_e32 v18, 30, v18
	v_cndmask_b32_e64 v19, -v19, v20, s[6:7]
	v_and_b32_e32 v18, 0x80000000, v18
	v_xor_b32_e32 v18, v18, v19
	v_cmp_class_f32_e64 s[6:7], v5, s33
	v_cndmask_b32_e64 v19, v15, v18, s[6:7]
	v_mul_f32_e32 v18, v17, v17
	v_mov_b32_e32 v20, 0x3c0881c4
	v_fmac_f32_e32 v20, 0xb94c1982, v18
	v_fma_f32 v20, v18, v20, v9
	v_mul_f32_e32 v20, v18, v20
	v_fmac_f32_e32 v17, v17, v20
	v_mov_b32_e32 v20, 0xbab64f3b
	v_fmac_f32_e32 v20, 0x37d75334, v18
	v_fma_f32 v20, v18, v20, v10
	v_fma_f32 v20, v18, v20, v11
	v_fma_f32 v18, v18, v20, 1.0
	v_and_b32_e32 v20, 1, v16
	v_lshlrev_b32_e32 v16, 30, v16
	v_cmp_eq_u32_e64 s[8:9], 0, v20
	v_and_b32_e32 v16, 0x80000000, v16
	v_xor_b32_e32 v5, v7, v5
	v_cndmask_b32_e64 v17, v18, v17, s[8:9]
	v_xor_b32_e32 v5, v5, v16
	v_xor_b32_e32 v5, v5, v17
	v_cndmask_b32_e64 v18, v15, v5, s[6:7]
	v_mul_f32_e32 v5, v26, v26
	v_mov_b32_e32 v7, 0x3c0881c4
	v_fmac_f32_e32 v7, 0xb94c1982, v5
	v_fma_f32 v7, v5, v7, v9
	v_mul_f32_e32 v7, v5, v7
	v_fmac_f32_e32 v26, v26, v7
	v_mov_b32_e32 v7, 0xbab64f3b
	v_fmac_f32_e32 v7, 0x37d75334, v5
	v_fma_f32 v7, v5, v7, v10
	v_fma_f32 v7, v5, v7, v11
	v_fma_f32 v5, v5, v7, 1.0
	v_and_b32_e32 v7, 1, v2
	v_cmp_eq_u32_e64 s[6:7], 0, v7
	v_lshlrev_b32_e32 v2, 30, v2
	v_cndmask_b32_e64 v5, -v26, v5, s[6:7]
	v_and_b32_e32 v2, 0x80000000, v2
	v_xor_b32_e32 v2, v2, v5
	v_cndmask_b32_e32 v16, v15, v2, vcc
	v_mul_f32_e32 v2, v18, v24
	v_mul_f32_e32 v7, v2, v16
	;; [unrolled: 1-line block ×3, first 2 shown]
	v_pk_mul_f32 v[20:21], v[6:7], v[16:17]
	v_pk_add_f32 v[22:23], v[6:7], v[16:17] neg_lo:[0,1] neg_hi:[0,1]
	v_mul_f32_e32 v17, v19, v24
	v_mul_f32_e32 v5, v17, v16
	v_fmac_f32_e32 v5, v18, v4
	buffer_store_dword v20, v8, s[0:3], 0 offen
	buffer_store_dword v23, v8, s[0:3], 0 offen offset:4
	buffer_store_dword v5, v8, s[0:3], 0 offen offset:8
	s_waitcnt vmcnt(5)
	buffer_store_dword v25, v8, s[0:3], 0 offen offset:12
	v_mul_f32_e32 v7, v2, v4
	v_mul_f32_e32 v5, v19, v16
	v_mul_f32_e32 v2, v18, v16
	v_pk_mul_f32 v[20:21], v[6:7], v[4:5]
	v_fma_f32 v2, v17, v4, -v2
	v_pk_add_f32 v[22:23], v[6:7], v[4:5]
	buffer_store_dword v20, v8, s[0:3], 0 offen offset:16
	buffer_store_dword v23, v8, s[0:3], 0 offen offset:20
	;; [unrolled: 1-line block ×3, first 2 shown]
	s_waitcnt vmcnt(8)
	buffer_store_dword v27, v8, s[0:3], 0 offen offset:28
	v_xor_b32_e32 v2, 0x80000000, v24
	buffer_store_dword v2, v8, s[0:3], 0 offen offset:32
	v_add_u32_e32 v2, s19, v12
	s_add_i32 s19, s19, 4
	s_add_u32 s40, s40, s18
	s_addc_u32 s41, s41, 0
	s_add_u32 s42, s42, s18
	s_addc_u32 s43, s43, 0
	;; [unrolled: 2-line block ×5, first 2 shown]
	s_add_u32 s50, s50, s18
	v_pk_mul_f32 v[4:5], v[18:19], v[6:7] op_sel_hi:[1,0]
	s_addc_u32 s51, s51, 0
	buffer_store_dword v5, v8, s[0:3], 0 offen offset:40
	buffer_store_dword v4, v8, s[0:3], 0 offen offset:36
	s_waitcnt vmcnt(11)
	buffer_store_dword v28, v8, s[0:3], 0 offen offset:44
	s_cmpk_lg_i32 s19, 0x80
	v_add_u32_e32 v8, 48, v8
	buffer_store_dword v3, v2, s[0:3], 0 offen
	s_cbranch_scc0 .LBB5_26
.LBB5_2:                                ; =>This Inner Loop Header: Depth=1
	v_mov_b32_e32 v2, s41
	v_add_co_u32_e32 v4, vcc, s40, v0
	v_addc_co_u32_e32 v5, vcc, v2, v1, vcc
	global_load_dword v5, v[4:5], off
                                        ; implicit-def: $vgpr16
                                        ; implicit-def: $vgpr17
	s_waitcnt vmcnt(0)
	v_and_b32_e32 v7, 0x7fffffff, v5
	v_lshrrev_b32_e32 v2, 23, v7
	v_and_b32_e32 v4, 0x7fffff, v7
	v_cmp_nlt_f32_e64 s[12:13], |v5|, s20
	v_add_u32_e32 v6, 0xffffff88, v2
	v_or_b32_e32 v4, 0x800000, v4
	s_and_saveexec_b64 s[6:7], s[12:13]
	s_xor_b64 s[14:15], exec, s[6:7]
	s_cbranch_execz .LBB5_4
; %bb.3:                                ;   in Loop: Header=BB5_2 Depth=1
	v_cmp_lt_u32_e32 vcc, 63, v6
	v_cndmask_b32_e32 v2, 0, v13, vcc
	v_add_u32_e32 v2, v2, v6
	v_cmp_lt_u32_e64 s[6:7], 31, v2
	v_cndmask_b32_e64 v16, 0, v14, s[6:7]
	v_add_u32_e32 v2, v16, v2
	v_cmp_lt_u32_e64 s[8:9], 31, v2
	v_cndmask_b32_e64 v16, 0, v14, s[8:9]
	v_add_u32_e32 v30, v16, v2
	v_mad_u64_u32 v[16:17], s[10:11], v4, s21, 0
	v_mov_b32_e32 v2, v17
	v_mad_u64_u32 v[18:19], s[10:11], v4, s22, v[2:3]
	v_mov_b32_e32 v2, v19
	v_mad_u64_u32 v[20:21], s[10:11], v4, s23, v[2:3]
	v_mov_b32_e32 v2, v21
	v_mad_u64_u32 v[22:23], s[10:11], v4, s24, v[2:3]
	v_mov_b32_e32 v2, v23
	v_mad_u64_u32 v[24:25], s[10:11], v4, s25, v[2:3]
	v_mov_b32_e32 v2, v25
	v_mad_u64_u32 v[26:27], s[10:11], v4, s26, v[2:3]
	v_mov_b32_e32 v2, v27
	v_mad_u64_u32 v[28:29], s[10:11], v4, s27, v[2:3]
	v_cndmask_b32_e32 v17, v26, v22, vcc
	v_cndmask_b32_e32 v2, v28, v24, vcc
	;; [unrolled: 1-line block ×3, first 2 shown]
	v_cndmask_b32_e64 v19, v2, v17, s[6:7]
	v_cndmask_b32_e64 v2, v21, v2, s[6:7]
	v_cndmask_b32_e32 v21, v24, v20, vcc
	v_cndmask_b32_e64 v17, v17, v21, s[6:7]
	v_cndmask_b32_e32 v18, v22, v18, vcc
	v_cndmask_b32_e64 v2, v2, v19, s[8:9]
	v_cndmask_b32_e64 v19, v19, v17, s[8:9]
	v_sub_u32_e32 v23, 32, v30
	v_cndmask_b32_e64 v21, v21, v18, s[6:7]
	v_alignbit_b32 v24, v2, v19, v23
	v_cmp_eq_u32_e64 s[10:11], 0, v30
	v_cndmask_b32_e64 v17, v17, v21, s[8:9]
	v_cndmask_b32_e32 v16, v20, v16, vcc
	v_cndmask_b32_e64 v2, v24, v2, s[10:11]
	v_alignbit_b32 v22, v19, v17, v23
	v_cndmask_b32_e64 v16, v18, v16, s[6:7]
	v_cndmask_b32_e64 v19, v22, v19, s[10:11]
	v_bfe_u32 v25, v2, 29, 1
	v_cndmask_b32_e64 v16, v21, v16, s[8:9]
	v_alignbit_b32 v22, v2, v19, 30
	v_sub_u32_e32 v26, 0, v25
	v_alignbit_b32 v18, v17, v16, v23
	v_xor_b32_e32 v27, v22, v26
	v_cndmask_b32_e64 v17, v18, v17, s[10:11]
	v_alignbit_b32 v18, v19, v17, 30
	v_ffbh_u32_e32 v19, v27
	v_add_u32_e32 v19, 1, v19
	v_cmp_ne_u32_e32 vcc, v22, v26
	v_cndmask_b32_e32 v19, 33, v19, vcc
	v_alignbit_b32 v16, v17, v16, 30
	v_xor_b32_e32 v18, v18, v26
	v_sub_u32_e32 v20, 32, v19
	v_xor_b32_e32 v16, v16, v26
	v_alignbit_b32 v21, v27, v18, v20
	v_alignbit_b32 v16, v18, v16, v20
	;; [unrolled: 1-line block ×3, first 2 shown]
	v_ffbh_u32_e32 v18, v17
	v_min_u32_e32 v18, 32, v18
	v_lshrrev_b32_e32 v24, 29, v2
	v_sub_u32_e32 v20, 31, v18
	v_alignbit_b32 v16, v17, v16, v20
	v_lshlrev_b32_e32 v17, 31, v24
	v_or_b32_e32 v20, 0x33800000, v17
	v_add_lshl_u32 v18, v18, v19, 23
	v_lshrrev_b32_e32 v16, 9, v16
	v_sub_u32_e32 v18, v20, v18
	v_or_b32_e32 v16, v18, v16
	v_alignbit_b32 v18, v19, v21, 9
	v_or_b32_e32 v17, v18, v17
	v_xor_b32_e32 v17, 1.0, v17
	v_mul_f32_e32 v18, 0x3fc90fda, v17
	v_fma_f32 v19, v17, s28, -v18
	v_fmac_f32_e32 v19, 0x33a22168, v17
	v_fmac_f32_e32 v19, 0x3fc90fda, v16
	v_lshrrev_b32_e32 v2, 30, v2
	v_add_f32_e32 v17, v18, v19
	v_add_u32_e32 v16, v25, v2
.LBB5_4:                                ;   in Loop: Header=BB5_2 Depth=1
	s_or_saveexec_b64 s[6:7], s[14:15]
	v_mul_f32_e64 v2, |v5|, s29
	v_rndne_f32_e32 v2, v2
	s_xor_b64 exec, exec, s[6:7]
; %bb.5:                                ;   in Loop: Header=BB5_2 Depth=1
	v_cvt_i32_f32_e32 v16, v2
	v_fma_f32 v17, v2, s30, |v5|
	v_fmac_f32_e32 v17, 0xb3a22168, v2
	v_fmac_f32_e32 v17, 0xa7c234c4, v2
; %bb.6:                                ;   in Loop: Header=BB5_2 Depth=1
	s_or_b64 exec, exec, s[6:7]
                                        ; implicit-def: $vgpr18
                                        ; implicit-def: $vgpr19
	s_and_saveexec_b64 s[6:7], s[12:13]
	s_xor_b64 s[12:13], exec, s[6:7]
	s_cbranch_execz .LBB5_8
; %bb.7:                                ;   in Loop: Header=BB5_2 Depth=1
	v_cmp_lt_u32_e32 vcc, 63, v6
	v_cndmask_b32_e32 v2, 0, v13, vcc
	v_add_u32_e32 v2, v2, v6
	v_cmp_lt_u32_e64 s[6:7], 31, v2
	v_cndmask_b32_e64 v6, 0, v14, s[6:7]
	v_add_u32_e32 v2, v6, v2
	v_cmp_lt_u32_e64 s[8:9], 31, v2
	v_cndmask_b32_e64 v6, 0, v14, s[8:9]
	v_mad_u64_u32 v[18:19], s[10:11], v4, s21, 0
	v_add_u32_e32 v6, v6, v2
	v_mov_b32_e32 v2, v19
	v_mad_u64_u32 v[20:21], s[10:11], v4, s22, v[2:3]
	v_mov_b32_e32 v2, v21
	v_mad_u64_u32 v[22:23], s[10:11], v4, s23, v[2:3]
	v_mov_b32_e32 v2, v23
	v_mad_u64_u32 v[24:25], s[10:11], v4, s24, v[2:3]
	v_mov_b32_e32 v2, v25
	v_mad_u64_u32 v[26:27], s[10:11], v4, s25, v[2:3]
	v_mov_b32_e32 v2, v27
	v_mad_u64_u32 v[28:29], s[10:11], v4, s26, v[2:3]
	v_mov_b32_e32 v2, v29
	v_mad_u64_u32 v[30:31], s[10:11], v4, s27, v[2:3]
	v_cndmask_b32_e32 v19, v28, v24, vcc
	v_cndmask_b32_e32 v2, v30, v26, vcc
	;; [unrolled: 1-line block ×3, first 2 shown]
	v_cndmask_b32_e64 v4, v2, v19, s[6:7]
	v_cndmask_b32_e64 v2, v21, v2, s[6:7]
	v_cndmask_b32_e32 v21, v26, v22, vcc
	v_cndmask_b32_e64 v19, v19, v21, s[6:7]
	v_sub_u32_e32 v23, 32, v6
	v_cmp_eq_u32_e64 s[10:11], 0, v6
	v_cndmask_b32_e32 v6, v24, v20, vcc
	v_cndmask_b32_e64 v2, v2, v4, s[8:9]
	v_cndmask_b32_e64 v4, v4, v19, s[8:9]
	;; [unrolled: 1-line block ×3, first 2 shown]
	v_alignbit_b32 v25, v2, v4, v23
	v_cndmask_b32_e64 v19, v19, v20, s[8:9]
	v_cndmask_b32_e64 v2, v25, v2, s[10:11]
	v_alignbit_b32 v21, v4, v19, v23
	v_cndmask_b32_e32 v18, v22, v18, vcc
	v_cndmask_b32_e64 v4, v21, v4, s[10:11]
	v_bfe_u32 v25, v2, 29, 1
	v_cndmask_b32_e64 v6, v6, v18, s[6:7]
	v_alignbit_b32 v21, v2, v4, 30
	v_sub_u32_e32 v26, 0, v25
	v_cndmask_b32_e64 v6, v20, v6, s[8:9]
	v_xor_b32_e32 v27, v21, v26
	v_alignbit_b32 v18, v19, v6, v23
	v_cndmask_b32_e64 v18, v18, v19, s[10:11]
	v_ffbh_u32_e32 v19, v27
	v_add_u32_e32 v19, 1, v19
	v_cmp_ne_u32_e32 vcc, v21, v26
	v_alignbit_b32 v4, v4, v18, 30
	v_cndmask_b32_e32 v19, 33, v19, vcc
	v_alignbit_b32 v6, v18, v6, 30
	v_xor_b32_e32 v4, v4, v26
	v_sub_u32_e32 v20, 32, v19
	v_xor_b32_e32 v6, v6, v26
	v_alignbit_b32 v21, v27, v4, v20
	v_alignbit_b32 v4, v4, v6, v20
	;; [unrolled: 1-line block ×3, first 2 shown]
	v_ffbh_u32_e32 v18, v6
	v_min_u32_e32 v18, 32, v18
	v_lshrrev_b32_e32 v24, 29, v2
	v_sub_u32_e32 v20, 31, v18
	v_alignbit_b32 v4, v6, v4, v20
	v_lshlrev_b32_e32 v6, 31, v24
	v_or_b32_e32 v20, 0x33800000, v6
	v_add_lshl_u32 v18, v18, v19, 23
	v_lshrrev_b32_e32 v4, 9, v4
	v_sub_u32_e32 v18, v20, v18
	v_or_b32_e32 v4, v18, v4
	v_alignbit_b32 v18, v19, v21, 9
	v_or_b32_e32 v6, v18, v6
	v_xor_b32_e32 v6, 1.0, v6
	v_mul_f32_e32 v18, 0x3fc90fda, v6
	v_fma_f32 v19, v6, s28, -v18
	v_fmac_f32_e32 v19, 0x33a22168, v6
	v_fmac_f32_e32 v19, 0x3fc90fda, v4
	v_lshrrev_b32_e32 v2, 30, v2
	v_add_f32_e32 v19, v18, v19
	v_add_u32_e32 v18, v25, v2
                                        ; implicit-def: $vgpr2
	s_andn2_saveexec_b64 s[6:7], s[12:13]
	s_cbranch_execnz .LBB5_9
	s_branch .LBB5_10
.LBB5_8:                                ;   in Loop: Header=BB5_2 Depth=1
	s_andn2_saveexec_b64 s[6:7], s[12:13]
.LBB5_9:                                ;   in Loop: Header=BB5_2 Depth=1
	v_cvt_i32_f32_e32 v18, v2
	v_fma_f32 v19, v2, s30, |v5|
	v_fmac_f32_e32 v19, 0xb3a22168, v2
	v_fmac_f32_e32 v19, 0xa7c234c4, v2
.LBB5_10:                               ;   in Loop: Header=BB5_2 Depth=1
	s_or_b64 exec, exec, s[6:7]
	v_mov_b32_e32 v2, s43
	v_add_co_u32_e32 v20, vcc, s42, v0
	v_addc_co_u32_e32 v21, vcc, v2, v1, vcc
	global_load_dword v20, v[20:21], off
                                        ; implicit-def: $vgpr22
                                        ; implicit-def: $vgpr23
	s_waitcnt vmcnt(0)
	v_and_b32_e32 v21, 0x7fffffff, v20
	v_lshrrev_b32_e32 v2, 23, v21
	v_and_b32_e32 v4, 0x7fffff, v21
	v_cmp_nlt_f32_e64 s[12:13], |v20|, s20
	v_add_u32_e32 v25, 0xffffff88, v2
	v_or_b32_e32 v4, 0x800000, v4
	s_and_saveexec_b64 s[6:7], s[12:13]
	s_xor_b64 s[14:15], exec, s[6:7]
	s_cbranch_execz .LBB5_12
; %bb.11:                               ;   in Loop: Header=BB5_2 Depth=1
	v_cmp_lt_u32_e32 vcc, 63, v25
	v_cndmask_b32_e32 v2, 0, v13, vcc
	v_add_u32_e32 v2, v2, v25
	v_cmp_lt_u32_e64 s[6:7], 31, v2
	v_cndmask_b32_e64 v6, 0, v14, s[6:7]
	v_add_u32_e32 v2, v6, v2
	v_cmp_lt_u32_e64 s[8:9], 31, v2
	v_cndmask_b32_e64 v6, 0, v14, s[8:9]
	v_mad_u64_u32 v[22:23], s[10:11], v4, s21, 0
	v_add_u32_e32 v6, v6, v2
	v_mov_b32_e32 v2, v23
	v_mad_u64_u32 v[26:27], s[10:11], v4, s22, v[2:3]
	v_mov_b32_e32 v2, v27
	v_mad_u64_u32 v[28:29], s[10:11], v4, s23, v[2:3]
	;; [unrolled: 2-line block ×6, first 2 shown]
	v_cndmask_b32_e32 v23, v34, v30, vcc
	v_cndmask_b32_e32 v2, v36, v32, vcc
	;; [unrolled: 1-line block ×3, first 2 shown]
	v_cndmask_b32_e64 v24, v2, v23, s[6:7]
	v_cndmask_b32_e64 v2, v27, v2, s[6:7]
	v_cndmask_b32_e32 v27, v32, v28, vcc
	v_cndmask_b32_e64 v23, v23, v27, s[6:7]
	v_sub_u32_e32 v29, 32, v6
	v_cmp_eq_u32_e64 s[10:11], 0, v6
	v_cndmask_b32_e32 v6, v30, v26, vcc
	v_cndmask_b32_e64 v2, v2, v24, s[8:9]
	v_cndmask_b32_e64 v24, v24, v23, s[8:9]
	;; [unrolled: 1-line block ×3, first 2 shown]
	v_alignbit_b32 v31, v2, v24, v29
	v_cndmask_b32_e64 v23, v23, v26, s[8:9]
	v_cndmask_b32_e32 v22, v28, v22, vcc
	v_cndmask_b32_e64 v2, v31, v2, s[10:11]
	v_alignbit_b32 v27, v24, v23, v29
	v_cndmask_b32_e64 v6, v6, v22, s[6:7]
	v_cndmask_b32_e64 v24, v27, v24, s[10:11]
	v_bfe_u32 v31, v2, 29, 1
	v_cndmask_b32_e64 v6, v26, v6, s[8:9]
	v_alignbit_b32 v27, v2, v24, 30
	v_sub_u32_e32 v32, 0, v31
	v_alignbit_b32 v22, v23, v6, v29
	v_xor_b32_e32 v33, v27, v32
	v_cndmask_b32_e64 v22, v22, v23, s[10:11]
	v_alignbit_b32 v23, v24, v22, 30
	v_ffbh_u32_e32 v24, v33
	v_add_u32_e32 v24, 1, v24
	v_cmp_ne_u32_e32 vcc, v27, v32
	v_cndmask_b32_e32 v24, 33, v24, vcc
	v_alignbit_b32 v6, v22, v6, 30
	v_xor_b32_e32 v23, v23, v32
	v_sub_u32_e32 v26, 32, v24
	v_xor_b32_e32 v6, v6, v32
	v_alignbit_b32 v27, v33, v23, v26
	v_alignbit_b32 v6, v23, v6, v26
	;; [unrolled: 1-line block ×3, first 2 shown]
	v_ffbh_u32_e32 v23, v22
	v_min_u32_e32 v23, 32, v23
	v_lshrrev_b32_e32 v30, 29, v2
	v_sub_u32_e32 v26, 31, v23
	v_alignbit_b32 v6, v22, v6, v26
	v_lshlrev_b32_e32 v22, 31, v30
	v_or_b32_e32 v26, 0x33800000, v22
	v_add_lshl_u32 v23, v23, v24, 23
	v_lshrrev_b32_e32 v6, 9, v6
	v_sub_u32_e32 v23, v26, v23
	v_or_b32_e32 v6, v23, v6
	v_alignbit_b32 v23, v24, v27, 9
	v_or_b32_e32 v22, v23, v22
	v_xor_b32_e32 v22, 1.0, v22
	v_mul_f32_e32 v23, 0x3fc90fda, v22
	v_fma_f32 v24, v22, s28, -v23
	v_fmac_f32_e32 v24, 0x33a22168, v22
	v_fmac_f32_e32 v24, 0x3fc90fda, v6
	v_lshrrev_b32_e32 v2, 30, v2
	v_add_f32_e32 v23, v23, v24
	v_add_u32_e32 v22, v31, v2
.LBB5_12:                               ;   in Loop: Header=BB5_2 Depth=1
	s_or_saveexec_b64 s[6:7], s[14:15]
	v_mul_f32_e64 v2, |v20|, s29
	v_rndne_f32_e32 v2, v2
	s_xor_b64 exec, exec, s[6:7]
; %bb.13:                               ;   in Loop: Header=BB5_2 Depth=1
	v_cvt_i32_f32_e32 v22, v2
	v_fma_f32 v23, v2, s30, |v20|
	v_fmac_f32_e32 v23, 0xb3a22168, v2
	v_fmac_f32_e32 v23, 0xa7c234c4, v2
; %bb.14:                               ;   in Loop: Header=BB5_2 Depth=1
	s_or_b64 exec, exec, s[6:7]
                                        ; implicit-def: $vgpr6
                                        ; implicit-def: $vgpr24
	s_and_saveexec_b64 s[6:7], s[12:13]
	s_xor_b64 s[12:13], exec, s[6:7]
	s_cbranch_execz .LBB5_16
; %bb.15:                               ;   in Loop: Header=BB5_2 Depth=1
	v_cmp_lt_u32_e32 vcc, 63, v25
	v_cndmask_b32_e32 v2, 0, v13, vcc
	v_add_u32_e32 v2, v2, v25
	v_cmp_lt_u32_e64 s[6:7], 31, v2
	v_cndmask_b32_e64 v6, 0, v14, s[6:7]
	v_add_u32_e32 v2, v6, v2
	v_cmp_lt_u32_e64 s[8:9], 31, v2
	v_cndmask_b32_e64 v6, 0, v14, s[8:9]
	v_mad_u64_u32 v[24:25], s[10:11], v4, s21, 0
	v_add_u32_e32 v6, v6, v2
	v_mov_b32_e32 v2, v25
	v_mad_u64_u32 v[26:27], s[10:11], v4, s22, v[2:3]
	v_mov_b32_e32 v2, v27
	v_mad_u64_u32 v[28:29], s[10:11], v4, s23, v[2:3]
	;; [unrolled: 2-line block ×6, first 2 shown]
	v_cndmask_b32_e32 v25, v34, v30, vcc
	v_cndmask_b32_e32 v2, v36, v32, vcc
	;; [unrolled: 1-line block ×3, first 2 shown]
	v_cndmask_b32_e64 v4, v2, v25, s[6:7]
	v_cndmask_b32_e64 v2, v27, v2, s[6:7]
	v_cndmask_b32_e32 v27, v32, v28, vcc
	v_cndmask_b32_e64 v25, v25, v27, s[6:7]
	v_sub_u32_e32 v29, 32, v6
	v_cmp_eq_u32_e64 s[10:11], 0, v6
	v_cndmask_b32_e32 v6, v30, v26, vcc
	v_cndmask_b32_e64 v2, v2, v4, s[8:9]
	v_cndmask_b32_e64 v4, v4, v25, s[8:9]
	;; [unrolled: 1-line block ×3, first 2 shown]
	v_alignbit_b32 v31, v2, v4, v29
	v_cndmask_b32_e64 v25, v25, v26, s[8:9]
	v_cndmask_b32_e64 v2, v31, v2, s[10:11]
	v_alignbit_b32 v27, v4, v25, v29
	v_cndmask_b32_e32 v24, v28, v24, vcc
	v_cndmask_b32_e64 v4, v27, v4, s[10:11]
	v_bfe_u32 v31, v2, 29, 1
	v_cndmask_b32_e64 v6, v6, v24, s[6:7]
	v_alignbit_b32 v27, v2, v4, 30
	v_sub_u32_e32 v32, 0, v31
	v_cndmask_b32_e64 v6, v26, v6, s[8:9]
	v_xor_b32_e32 v33, v27, v32
	v_alignbit_b32 v24, v25, v6, v29
	v_cndmask_b32_e64 v24, v24, v25, s[10:11]
	v_ffbh_u32_e32 v25, v33
	v_add_u32_e32 v25, 1, v25
	v_cmp_ne_u32_e32 vcc, v27, v32
	v_alignbit_b32 v4, v4, v24, 30
	v_cndmask_b32_e32 v25, 33, v25, vcc
	v_alignbit_b32 v6, v24, v6, 30
	v_xor_b32_e32 v4, v4, v32
	v_sub_u32_e32 v26, 32, v25
	v_xor_b32_e32 v6, v6, v32
	v_alignbit_b32 v27, v33, v4, v26
	v_alignbit_b32 v4, v4, v6, v26
	;; [unrolled: 1-line block ×3, first 2 shown]
	v_ffbh_u32_e32 v24, v6
	v_min_u32_e32 v24, 32, v24
	v_lshrrev_b32_e32 v30, 29, v2
	v_sub_u32_e32 v26, 31, v24
	v_alignbit_b32 v4, v6, v4, v26
	v_lshlrev_b32_e32 v6, 31, v30
	v_or_b32_e32 v26, 0x33800000, v6
	v_add_lshl_u32 v24, v24, v25, 23
	v_lshrrev_b32_e32 v4, 9, v4
	v_sub_u32_e32 v24, v26, v24
	v_or_b32_e32 v4, v24, v4
	v_alignbit_b32 v24, v25, v27, 9
	v_or_b32_e32 v6, v24, v6
	v_xor_b32_e32 v6, 1.0, v6
	v_mul_f32_e32 v24, 0x3fc90fda, v6
	v_fma_f32 v25, v6, s28, -v24
	v_fmac_f32_e32 v25, 0x33a22168, v6
	v_fmac_f32_e32 v25, 0x3fc90fda, v4
	v_lshrrev_b32_e32 v2, 30, v2
	v_add_f32_e32 v24, v24, v25
	v_add_u32_e32 v6, v31, v2
                                        ; implicit-def: $vgpr2
	s_andn2_saveexec_b64 s[6:7], s[12:13]
	s_cbranch_execnz .LBB5_17
	s_branch .LBB5_18
.LBB5_16:                               ;   in Loop: Header=BB5_2 Depth=1
	s_andn2_saveexec_b64 s[6:7], s[12:13]
.LBB5_17:                               ;   in Loop: Header=BB5_2 Depth=1
	v_cvt_i32_f32_e32 v6, v2
	v_fma_f32 v24, v2, s30, |v20|
	v_fmac_f32_e32 v24, 0xb3a22168, v2
	v_fmac_f32_e32 v24, 0xa7c234c4, v2
.LBB5_18:                               ;   in Loop: Header=BB5_2 Depth=1
	s_or_b64 exec, exec, s[6:7]
	v_mov_b32_e32 v2, s45
	v_add_co_u32_e32 v26, vcc, s44, v0
	v_addc_co_u32_e32 v27, vcc, v2, v1, vcc
	global_load_dword v4, v[26:27], off
                                        ; implicit-def: $vgpr27
                                        ; implicit-def: $vgpr28
	s_waitcnt vmcnt(0)
	v_and_b32_e32 v25, 0x7fffffff, v4
	v_lshrrev_b32_e32 v2, 23, v25
	v_and_b32_e32 v26, 0x7fffff, v25
	v_cmp_nlt_f32_e64 s[12:13], |v4|, s20
	v_add_u32_e32 v30, 0xffffff88, v2
	v_or_b32_e32 v29, 0x800000, v26
	s_and_saveexec_b64 s[6:7], s[12:13]
	s_xor_b64 s[14:15], exec, s[6:7]
	s_cbranch_execz .LBB5_20
; %bb.19:                               ;   in Loop: Header=BB5_2 Depth=1
	v_cmp_lt_u32_e32 vcc, 63, v30
	v_cndmask_b32_e32 v2, 0, v13, vcc
	v_add_u32_e32 v2, v2, v30
	v_cmp_lt_u32_e64 s[6:7], 31, v2
	v_cndmask_b32_e64 v26, 0, v14, s[6:7]
	v_add_u32_e32 v2, v26, v2
	v_cmp_lt_u32_e64 s[8:9], 31, v2
	v_cndmask_b32_e64 v26, 0, v14, s[8:9]
	v_add_u32_e32 v28, v26, v2
	v_mad_u64_u32 v[26:27], s[10:11], v29, s21, 0
	v_mov_b32_e32 v2, v27
	v_mad_u64_u32 v[32:33], s[10:11], v29, s22, v[2:3]
	v_mov_b32_e32 v2, v33
	;; [unrolled: 2-line block ×6, first 2 shown]
	v_mad_u64_u32 v[42:43], s[10:11], v29, s27, v[2:3]
	v_cndmask_b32_e32 v27, v40, v36, vcc
	v_cndmask_b32_e32 v2, v42, v38, vcc
	v_cndmask_b32_e32 v33, v43, v40, vcc
	v_cndmask_b32_e64 v31, v2, v27, s[6:7]
	v_cndmask_b32_e64 v2, v33, v2, s[6:7]
	v_cndmask_b32_e32 v33, v38, v34, vcc
	v_cndmask_b32_e64 v27, v27, v33, s[6:7]
	v_sub_u32_e32 v35, 32, v28
	v_cmp_eq_u32_e64 s[10:11], 0, v28
	v_cndmask_b32_e32 v28, v36, v32, vcc
	v_cndmask_b32_e64 v2, v2, v31, s[8:9]
	v_cndmask_b32_e64 v31, v31, v27, s[8:9]
	;; [unrolled: 1-line block ×3, first 2 shown]
	v_alignbit_b32 v37, v2, v31, v35
	v_cndmask_b32_e64 v27, v27, v32, s[8:9]
	v_cndmask_b32_e32 v26, v34, v26, vcc
	v_cndmask_b32_e64 v2, v37, v2, s[10:11]
	v_alignbit_b32 v33, v31, v27, v35
	v_cndmask_b32_e64 v26, v28, v26, s[6:7]
	v_cndmask_b32_e64 v31, v33, v31, s[10:11]
	v_bfe_u32 v37, v2, 29, 1
	v_cndmask_b32_e64 v26, v32, v26, s[8:9]
	v_alignbit_b32 v33, v2, v31, 30
	v_sub_u32_e32 v38, 0, v37
	v_alignbit_b32 v28, v27, v26, v35
	v_xor_b32_e32 v39, v33, v38
	v_cndmask_b32_e64 v27, v28, v27, s[10:11]
	v_alignbit_b32 v28, v31, v27, 30
	v_ffbh_u32_e32 v31, v39
	v_add_u32_e32 v31, 1, v31
	v_cmp_ne_u32_e32 vcc, v33, v38
	v_cndmask_b32_e32 v31, 33, v31, vcc
	v_alignbit_b32 v26, v27, v26, 30
	v_xor_b32_e32 v28, v28, v38
	v_sub_u32_e32 v32, 32, v31
	v_xor_b32_e32 v26, v26, v38
	v_alignbit_b32 v33, v39, v28, v32
	v_alignbit_b32 v26, v28, v26, v32
	;; [unrolled: 1-line block ×3, first 2 shown]
	v_ffbh_u32_e32 v28, v27
	v_min_u32_e32 v28, 32, v28
	v_lshrrev_b32_e32 v36, 29, v2
	v_sub_u32_e32 v32, 31, v28
	v_alignbit_b32 v26, v27, v26, v32
	v_lshlrev_b32_e32 v27, 31, v36
	v_or_b32_e32 v32, 0x33800000, v27
	v_add_lshl_u32 v28, v28, v31, 23
	v_lshrrev_b32_e32 v26, 9, v26
	v_sub_u32_e32 v28, v32, v28
	v_or_b32_e32 v26, v28, v26
	v_alignbit_b32 v28, v31, v33, 9
	v_or_b32_e32 v27, v28, v27
	v_xor_b32_e32 v27, 1.0, v27
	v_mul_f32_e32 v28, 0x3fc90fda, v27
	v_fma_f32 v31, v27, s28, -v28
	v_fmac_f32_e32 v31, 0x33a22168, v27
	v_fmac_f32_e32 v31, 0x3fc90fda, v26
	v_lshrrev_b32_e32 v2, 30, v2
	v_add_f32_e32 v28, v28, v31
	v_add_u32_e32 v27, v37, v2
.LBB5_20:                               ;   in Loop: Header=BB5_2 Depth=1
	s_or_saveexec_b64 s[6:7], s[14:15]
	v_mul_f32_e64 v2, |v4|, s29
	v_rndne_f32_e32 v31, v2
	s_xor_b64 exec, exec, s[6:7]
; %bb.21:                               ;   in Loop: Header=BB5_2 Depth=1
	v_cvt_i32_f32_e32 v27, v31
	v_fma_f32 v28, v31, s30, |v4|
	v_fmac_f32_e32 v28, 0xb3a22168, v31
	v_fmac_f32_e32 v28, 0xa7c234c4, v31
; %bb.22:                               ;   in Loop: Header=BB5_2 Depth=1
	s_or_b64 exec, exec, s[6:7]
                                        ; implicit-def: $vgpr2
                                        ; implicit-def: $vgpr26
	s_and_saveexec_b64 s[6:7], s[12:13]
	s_xor_b64 s[12:13], exec, s[6:7]
	s_cbranch_execz .LBB5_24
; %bb.23:                               ;   in Loop: Header=BB5_2 Depth=1
	v_cmp_lt_u32_e32 vcc, 63, v30
	v_cndmask_b32_e32 v2, 0, v13, vcc
	v_add_u32_e32 v2, v2, v30
	v_cmp_lt_u32_e64 s[6:7], 31, v2
	v_cndmask_b32_e64 v26, 0, v14, s[6:7]
	v_add_u32_e32 v2, v26, v2
	v_cmp_lt_u32_e64 s[8:9], 31, v2
	v_cndmask_b32_e64 v26, 0, v14, s[8:9]
	v_mad_u64_u32 v[30:31], s[10:11], v29, s21, 0
	v_add_u32_e32 v26, v26, v2
	v_mov_b32_e32 v2, v31
	v_mad_u64_u32 v[32:33], s[10:11], v29, s22, v[2:3]
	v_mov_b32_e32 v2, v33
	v_mad_u64_u32 v[34:35], s[10:11], v29, s23, v[2:3]
	;; [unrolled: 2-line block ×6, first 2 shown]
	v_cndmask_b32_e32 v31, v40, v36, vcc
	v_cndmask_b32_e32 v2, v42, v38, vcc
	;; [unrolled: 1-line block ×3, first 2 shown]
	v_cndmask_b32_e64 v29, v2, v31, s[6:7]
	v_cndmask_b32_e64 v2, v33, v2, s[6:7]
	v_cndmask_b32_e32 v33, v38, v34, vcc
	v_cndmask_b32_e64 v31, v31, v33, s[6:7]
	v_sub_u32_e32 v35, 32, v26
	v_cmp_eq_u32_e64 s[10:11], 0, v26
	v_cndmask_b32_e32 v26, v36, v32, vcc
	v_cndmask_b32_e64 v2, v2, v29, s[8:9]
	v_cndmask_b32_e64 v29, v29, v31, s[8:9]
	;; [unrolled: 1-line block ×3, first 2 shown]
	v_alignbit_b32 v37, v2, v29, v35
	v_cndmask_b32_e64 v31, v31, v32, s[8:9]
	v_cndmask_b32_e64 v2, v37, v2, s[10:11]
	v_alignbit_b32 v33, v29, v31, v35
	v_cndmask_b32_e32 v30, v34, v30, vcc
	v_cndmask_b32_e64 v29, v33, v29, s[10:11]
	v_bfe_u32 v37, v2, 29, 1
	v_cndmask_b32_e64 v26, v26, v30, s[6:7]
	v_alignbit_b32 v33, v2, v29, 30
	v_sub_u32_e32 v38, 0, v37
	v_cndmask_b32_e64 v26, v32, v26, s[8:9]
	v_xor_b32_e32 v39, v33, v38
	v_alignbit_b32 v30, v31, v26, v35
	v_cndmask_b32_e64 v30, v30, v31, s[10:11]
	v_ffbh_u32_e32 v31, v39
	v_add_u32_e32 v31, 1, v31
	v_cmp_ne_u32_e32 vcc, v33, v38
	v_alignbit_b32 v29, v29, v30, 30
	v_cndmask_b32_e32 v31, 33, v31, vcc
	v_alignbit_b32 v26, v30, v26, 30
	v_xor_b32_e32 v29, v29, v38
	v_sub_u32_e32 v32, 32, v31
	v_xor_b32_e32 v26, v26, v38
	v_alignbit_b32 v33, v39, v29, v32
	v_alignbit_b32 v26, v29, v26, v32
	;; [unrolled: 1-line block ×3, first 2 shown]
	v_ffbh_u32_e32 v30, v29
	v_min_u32_e32 v30, 32, v30
	v_lshrrev_b32_e32 v36, 29, v2
	v_sub_u32_e32 v32, 31, v30
	v_alignbit_b32 v26, v29, v26, v32
	v_lshlrev_b32_e32 v29, 31, v36
	v_or_b32_e32 v32, 0x33800000, v29
	v_add_lshl_u32 v30, v30, v31, 23
	v_lshrrev_b32_e32 v26, 9, v26
	v_sub_u32_e32 v30, v32, v30
	v_or_b32_e32 v26, v30, v26
	v_alignbit_b32 v30, v31, v33, 9
	v_or_b32_e32 v29, v30, v29
	v_xor_b32_e32 v29, 1.0, v29
	v_mul_f32_e32 v30, 0x3fc90fda, v29
	v_fma_f32 v31, v29, s28, -v30
	v_fmac_f32_e32 v31, 0x33a22168, v29
	v_fmac_f32_e32 v31, 0x3fc90fda, v26
	v_lshrrev_b32_e32 v2, 30, v2
	v_add_f32_e32 v26, v30, v31
	v_add_u32_e32 v2, v37, v2
                                        ; implicit-def: $vgpr31
	s_andn2_saveexec_b64 s[6:7], s[12:13]
	s_cbranch_execz .LBB5_1
	s_branch .LBB5_25
.LBB5_24:                               ;   in Loop: Header=BB5_2 Depth=1
	s_andn2_saveexec_b64 s[6:7], s[12:13]
	s_cbranch_execz .LBB5_1
.LBB5_25:                               ;   in Loop: Header=BB5_2 Depth=1
	v_cvt_i32_f32_e32 v2, v31
	v_fma_f32 v26, v31, s30, |v4|
	v_fmac_f32_e32 v26, 0xb3a22168, v31
	v_fmac_f32_e32 v26, 0xa7c234c4, v31
	s_branch .LBB5_1
.LBB5_26:
	s_load_dwordx2 s[6:7], s[4:5], 0x0
	s_load_dwordx4 s[24:27], s[4:5], 0x48
	buffer_load_dword v0, off, s[0:3], 0 offset:164
	buffer_load_dword v1, off, s[0:3], 0 offset:212
	s_mov_b32 s29, 0
	s_movk_i32 s41, 0x46
	s_waitcnt lgkmcnt(0)
	s_max_i32 s33, s7, 1
	s_max_i32 s40, s6, 1
	s_add_u32 s22, s36, 8
	s_addc_u32 s23, s37, 0
	s_movk_i32 s42, 0x45
	s_mov_b32 s43, 0xf800000
	s_mov_b32 s30, 0x42340000
	;; [unrolled: 1-line block ×3, first 2 shown]
	v_mov_b32_e32 v34, 0
	v_mov_b32_e32 v35, 0x260
	;; [unrolled: 1-line block ×3, first 2 shown]
	s_waitcnt vmcnt(0)
	buffer_store_dword v0, off, s[0:3], 0 offset:1816 ; 4-byte Folded Spill
	s_nop 0
	buffer_store_dword v1, off, s[0:3], 0 offset:1820 ; 4-byte Folded Spill
	buffer_load_dword v0, off, s[0:3], 0 offset:260
	s_nop 0
	buffer_load_dword v2, off, s[0:3], 0 offset:264
	buffer_load_dword v1, off, s[0:3], 0 offset:308
	s_waitcnt vmcnt(0)
	buffer_store_dword v0, off, s[0:3], 0 offset:1824 ; 4-byte Folded Spill
	s_nop 0
	buffer_store_dword v1, off, s[0:3], 0 offset:1828 ; 4-byte Folded Spill
	buffer_load_dword v3, off, s[0:3], 0 offset:312
	s_waitcnt vmcnt(0)
	buffer_store_dword v2, off, s[0:3], 0 offset:1832 ; 4-byte Folded Spill
	s_nop 0
	buffer_store_dword v3, off, s[0:3], 0 offset:1836 ; 4-byte Folded Spill
	buffer_load_dword v0, off, s[0:3], 0 offset:344
	s_nop 0
	buffer_load_dword v2, off, s[0:3], 0 offset:328
	buffer_load_dword v3, off, s[0:3], 0 offset:376
	s_waitcnt vmcnt(0)
	buffer_store_dword v2, off, s[0:3], 0 offset:1848 ; 4-byte Folded Spill
	s_nop 0
	buffer_store_dword v3, off, s[0:3], 0 offset:1852 ; 4-byte Folded Spill
	buffer_load_dword v2, off, s[0:3], 0 offset:356
	s_nop 0
	buffer_load_dword v4, off, s[0:3], 0 offset:360
	buffer_load_dword v3, off, s[0:3], 0 offset:404
	s_waitcnt vmcnt(0)
	buffer_store_dword v2, off, s[0:3], 0 offset:1856 ; 4-byte Folded Spill
	s_nop 0
	buffer_store_dword v3, off, s[0:3], 0 offset:1860 ; 4-byte Folded Spill
	buffer_load_dword v5, off, s[0:3], 0 offset:408
	s_waitcnt vmcnt(0)
	buffer_store_dword v4, off, s[0:3], 0 offset:1864 ; 4-byte Folded Spill
	s_nop 0
	buffer_store_dword v5, off, s[0:3], 0 offset:1868 ; 4-byte Folded Spill
	buffer_load_dword v1, off, s[0:3], 0 offset:392
	s_waitcnt vmcnt(0)
	buffer_store_dword v0, off, s[0:3], 0 offset:1840 ; 4-byte Folded Spill
	s_nop 0
	buffer_store_dword v1, off, s[0:3], 0 offset:1844 ; 4-byte Folded Spill
	buffer_load_dword v0, off, s[0:3], 0 offset:440
	s_nop 0
	buffer_load_dword v2, off, s[0:3], 0 offset:424
	buffer_load_dword v3, off, s[0:3], 0 offset:472
	s_waitcnt vmcnt(0)
	buffer_store_dword v2, off, s[0:3], 0 offset:1880 ; 4-byte Folded Spill
	s_nop 0
	buffer_store_dword v3, off, s[0:3], 0 offset:1884 ; 4-byte Folded Spill
	buffer_load_dword v2, off, s[0:3], 0 offset:452
	s_nop 0
	buffer_load_dword v4, off, s[0:3], 0 offset:456
	buffer_load_dword v3, off, s[0:3], 0 offset:500
	s_waitcnt vmcnt(0)
	buffer_store_dword v2, off, s[0:3], 0 offset:1888 ; 4-byte Folded Spill
	s_nop 0
	buffer_store_dword v3, off, s[0:3], 0 offset:1892 ; 4-byte Folded Spill
	;; [unrolled: 26-line block ×10, first 2 shown]
	buffer_load_dword v5, off, s[0:3], 0 offset:1272
	s_waitcnt vmcnt(0)
	buffer_store_dword v4, off, s[0:3], 0 offset:2152 ; 4-byte Folded Spill
	s_nop 0
	buffer_store_dword v5, off, s[0:3], 0 offset:2156 ; 4-byte Folded Spill
	buffer_load_dword v1, off, s[0:3], 0 offset:1256
	s_waitcnt vmcnt(0)
	buffer_store_dword v0, off, s[0:3], 0 offset:2128 ; 4-byte Folded Spill
	s_nop 0
	buffer_store_dword v1, off, s[0:3], 0 offset:2132 ; 4-byte Folded Spill
	buffer_load_dword v106, off, s[0:3], 0 offset:8
	buffer_load_dword v111, off, s[0:3], 0 offset:4
	buffer_load_dword v110, off, s[0:3], 0
	buffer_load_dword v48, off, s[0:3], 0 offset:56
	buffer_load_dword v92, off, s[0:3], 0 offset:24
	;; [unrolled: 1-line block ×5, first 2 shown]
	s_waitcnt vmcnt(0)
	buffer_store_dword v0, off, s[0:3], 0 offset:2160 ; 4-byte Folded Spill
	buffer_load_dword v107, off, s[0:3], 0 offset:12
	s_nop 0
	buffer_load_dword v0, off, s[0:3], 0 offset:136
	buffer_load_dword v1, off, s[0:3], 0 offset:188
	s_waitcnt vmcnt(0)
	buffer_store_dword v1, off, s[0:3], 0 offset:2172 ; 4-byte Folded Spill
	buffer_load_dword v49, off, s[0:3], 0 offset:60
	s_nop 0
	buffer_load_dword v1, off, s[0:3], 0 offset:184
	s_waitcnt vmcnt(0)
	buffer_store_dword v0, off, s[0:3], 0 offset:2164 ; 4-byte Folded Spill
	s_nop 0
	buffer_store_dword v1, off, s[0:3], 0 offset:2168 ; 4-byte Folded Spill
	buffer_load_dword v101, off, s[0:3], 0 offset:52
	buffer_load_dword v100, off, s[0:3], 0 offset:48
	s_nop 0
	buffer_load_dword v0, off, s[0:3], 0 offset:172
	s_waitcnt vmcnt(0)
	buffer_store_dword v0, off, s[0:3], 0 offset:2176 ; 4-byte Folded Spill
	buffer_load_dword v113, off, s[0:3], 0 offset:44
	s_nop 0
	buffer_load_dword v0, off, s[0:3], 0 offset:168
	buffer_load_dword v112, off, s[0:3], 0 offset:40
	;; [unrolled: 1-line block ×6, first 2 shown]
	s_waitcnt vmcnt(0)
	buffer_store_dword v1, off, s[0:3], 0 offset:2188 ; 4-byte Folded Spill
	buffer_load_dword v93, off, s[0:3], 0 offset:28
	buffer_load_dword v2, off, s[0:3], 0 offset:152
	s_nop 0
	buffer_load_dword v1, off, s[0:3], 0 offset:204
	s_waitcnt vmcnt(0)
	buffer_store_dword v1, off, s[0:3], 0 offset:2200 ; 4-byte Folded Spill
	buffer_load_dword v75, off, s[0:3], 0 offset:76
	buffer_load_dword v3, off, s[0:3], 0 offset:200
	s_waitcnt vmcnt(0)
	buffer_store_dword v2, off, s[0:3], 0 offset:2192 ; 4-byte Folded Spill
	s_nop 0
	buffer_store_dword v3, off, s[0:3], 0 offset:2196 ; 4-byte Folded Spill
	buffer_load_dword v83, off, s[0:3], 0 offset:68
	buffer_load_dword v82, off, s[0:3], 0 offset:64
	;; [unrolled: 1-line block ×3, first 2 shown]
	s_waitcnt vmcnt(0)
	buffer_store_dword v1, off, s[0:3], 0 offset:2204 ; 4-byte Folded Spill
	buffer_load_dword v123, off, s[0:3], 0 offset:92
	s_nop 0
	buffer_load_dword v1, off, s[0:3], 0 offset:216
	s_waitcnt vmcnt(0)
	buffer_store_dword v0, off, s[0:3], 0 offset:2180 ; 4-byte Folded Spill
	s_nop 0
	buffer_store_dword v1, off, s[0:3], 0 offset:2184 ; 4-byte Folded Spill
	buffer_load_dword v122, off, s[0:3], 0 offset:88
	buffer_load_dword v127, off, s[0:3], 0 offset:84
	;; [unrolled: 1-line block ×6, first 2 shown]
	s_waitcnt vmcnt(0)
	buffer_store_dword v0, off, s[0:3], 0 offset:2208 ; 4-byte Folded Spill
	buffer_load_dword v1, off, s[0:3], 0 offset:280
	s_nop 0
	buffer_load_dword v0, off, s[0:3], 0 offset:232
	s_waitcnt vmcnt(0)
	buffer_store_dword v0, off, s[0:3], 0 offset:2212 ; 4-byte Folded Spill
	s_nop 0
	buffer_store_dword v1, off, s[0:3], 0 offset:2216 ; 4-byte Folded Spill
	buffer_load_dword v9, off, s[0:3], 0 offset:100
	buffer_load_dword v8, off, s[0:3], 0 offset:96
	;; [unrolled: 1-line block ×4, first 2 shown]
	s_nop 0
	buffer_load_dword v0, off, s[0:3], 0 offset:252
	s_waitcnt vmcnt(0)
	buffer_store_dword v0, off, s[0:3], 0 offset:2220 ; 4-byte Folded Spill
	buffer_load_dword v1, off, s[0:3], 0 offset:296
	s_nop 0
	buffer_load_dword v0, off, s[0:3], 0 offset:248
	s_waitcnt vmcnt(0)
	buffer_store_dword v0, off, s[0:3], 0 offset:2224 ; 4-byte Folded Spill
	s_nop 0
	buffer_store_dword v1, off, s[0:3], 0 offset:2228 ; 4-byte Folded Spill
	buffer_load_dword v13, off, s[0:3], 0 offset:116
	buffer_load_dword v12, off, s[0:3], 0 offset:112
	s_nop 0
	buffer_load_dword v0, off, s[0:3], 0 offset:276
	s_waitcnt vmcnt(0)
	buffer_store_dword v0, off, s[0:3], 0 offset:2232 ; 4-byte Folded Spill
	buffer_load_dword v0, off, s[0:3], 0 offset:340
	s_waitcnt vmcnt(0)
	buffer_store_dword v0, off, s[0:3], 0 offset:2236 ; 4-byte Folded Spill
	;; [unrolled: 3-line block ×192, first 2 shown]
	buffer_load_dword v52, off, s[0:3], 0 offset:1304
	buffer_load_dword v104, off, s[0:3], 0 offset:1288
	s_nop 0
	buffer_load_dword v0, off, s[0:3], 0 offset:1316
	s_waitcnt vmcnt(0)
	buffer_store_dword v0, off, s[0:3], 0 offset:1776 ; 4-byte Folded Spill
	s_nop 0
	buffer_store_dword v1, off, s[0:3], 0 offset:1780 ; 4-byte Folded Spill
	buffer_load_dword v0, off, s[0:3], 0 offset:1320
	s_waitcnt vmcnt(0)
	buffer_store_dword v0, off, s[0:3], 0 offset:1784 ; 4-byte Folded Spill
	s_nop 0
	buffer_store_dword v1, off, s[0:3], 0 offset:1788 ; 4-byte Folded Spill
.LBB5_27:                               ; =>This Loop Header: Depth=1
                                        ;     Child Loop BB5_28 Depth 2
	s_lshl_b64 s[4:5], s[28:29], 4
	s_add_u32 s4, s38, s4
	s_addc_u32 s5, s39, s5
	buffer_load_dword v5, off, s[0:3], 0 offset:1376
	buffer_load_dword v10, off, s[0:3], 0 offset:1380
	;; [unrolled: 1-line block ×5, first 2 shown]
	global_load_dwordx4 v[0:3], v34, s[4:5]
	s_waitcnt vmcnt(7)
	v_mov_b32_e32 v38, v104
	s_mov_b32 s44, s33
	s_mov_b64 s[34:35], s[22:23]
	s_waitcnt vmcnt(0)
	v_fmac_f32_e32 v6, v0, v5
	buffer_load_dword v7, off, s[0:3], 0 offset:1436
	buffer_load_dword v17, off, s[0:3], 0 offset:1440
	;; [unrolled: 1-line block ×8, first 2 shown]
	v_fmac_f32_e32 v6, v1, v10
	s_waitcnt vmcnt(3)
	v_fmac_f32_e32 v15, v0, v17
	v_fmac_f32_e32 v15, v1, v18
	s_waitcnt vmcnt(1)
	v_fmac_f32_e32 v7, v0, v14
	s_waitcnt vmcnt(0)
	v_fmac_f32_e32 v7, v1, v16
	v_pk_fma_f32 v[4:5], v[2:3], v[4:5], v[6:7] op_sel_hi:[0,1,1]
	buffer_store_dword v4, off, s[0:3], 0 offset:1792 ; 4-byte Folded Spill
	s_nop 0
	buffer_store_dword v5, off, s[0:3], 0 offset:1796 ; 4-byte Folded Spill
	buffer_load_dword v4, off, s[0:3], 0 offset:1412
	s_nop 0
	buffer_load_dword v6, off, s[0:3], 0 offset:1416
	buffer_load_dword v16, off, s[0:3], 0 offset:1420
	;; [unrolled: 1-line block ×6, first 2 shown]
	s_waitcnt vmcnt(2)
	v_fmac_f32_e32 v14, v0, v5
	s_waitcnt vmcnt(1)
	v_fmac_f32_e32 v14, v1, v7
	s_waitcnt vmcnt(0)
	v_pk_fma_f32 v[58:59], v[2:3], v[10:11], v[14:15] op_sel_hi:[0,1,1]
	buffer_load_dword v5, off, s[0:3], 0 offset:1476
	buffer_load_dword v10, off, s[0:3], 0 offset:1480
	buffer_load_dword v17, off, s[0:3], 0 offset:1468
	buffer_load_dword v7, off, s[0:3], 0 offset:1472
	buffer_load_dword v14, off, s[0:3], 0 offset:1484
	s_waitcnt vmcnt(0)
	v_fmac_f32_e32 v14, v0, v7
	buffer_load_dword v15, off, s[0:3], 0 offset:1532
	buffer_load_dword v7, off, s[0:3], 0 offset:1536
	;; [unrolled: 1-line block ×8, first 2 shown]
	v_fmac_f32_e32 v14, v1, v5
	s_waitcnt vmcnt(3)
	v_fmac_f32_e32 v21, v0, v7
	v_fmac_f32_e32 v21, v1, v18
	s_waitcnt vmcnt(1)
	v_fmac_f32_e32 v15, v0, v20
	s_waitcnt vmcnt(0)
	v_fmac_f32_e32 v15, v1, v22
	v_pk_fma_f32 v[60:61], v[2:3], v[10:11], v[14:15] op_sel_hi:[0,1,1]
	buffer_load_dword v10, off, s[0:3], 0 offset:1508
	buffer_load_dword v14, off, s[0:3], 0 offset:1512
	;; [unrolled: 1-line block ×7, first 2 shown]
	s_waitcnt vmcnt(2)
	v_fmac_f32_e32 v20, v0, v5
	s_waitcnt vmcnt(1)
	v_fmac_f32_e32 v20, v1, v11
	s_waitcnt vmcnt(0)
	v_pk_fma_f32 v[62:63], v[2:3], v[18:19], v[20:21] op_sel_hi:[0,1,1]
	buffer_load_dword v5, off, s[0:3], 0 offset:1572
	buffer_load_dword v18, off, s[0:3], 0 offset:1576
	;; [unrolled: 1-line block ×5, first 2 shown]
	s_waitcnt vmcnt(0)
	v_fmac_f32_e32 v20, v0, v7
	buffer_load_dword v7, off, s[0:3], 0 offset:1644
	buffer_load_dword v24, off, s[0:3], 0 offset:1632
	;; [unrolled: 1-line block ×7, first 2 shown]
	v_fmac_f32_e32 v20, v1, v5
	s_waitcnt vmcnt(1)
	v_fmac_f32_e32 v21, v0, v11
	s_waitcnt vmcnt(0)
	v_fmac_f32_e32 v21, v1, v15
	v_pk_fma_f32 v[64:65], v[2:3], v[18:19], v[20:21] op_sel_hi:[0,1,1]
	v_pk_mul_f32 v[18:19], v[0:1], v[24:25]
	v_add_f32_e32 v5, v7, v18
	v_add_f32_e32 v19, v5, v19
	buffer_load_dword v18, off, s[0:3], 0 offset:1596
	buffer_load_dword v5, off, s[0:3], 0 offset:1584
	buffer_load_dword v7, off, s[0:3], 0 offset:1588
	buffer_load_dword v21, off, s[0:3], 0 offset:1600
	buffer_load_dword v20, off, s[0:3], 0 offset:1604
	buffer_load_dword v24, off, s[0:3], 0 offset:1608
	buffer_load_dword v26, off, s[0:3], 0 offset:1612
	buffer_load_dword v28, off, s[0:3], 0 offset:1592
	buffer_load_dword v29, off, s[0:3], 0 offset:1640
	s_waitcnt vmcnt(7)
	v_fmac_f32_e32 v18, v0, v5
	buffer_load_dword v5, off, s[0:3], 0 offset:1408
	s_waitcnt vmcnt(7)
	v_fmac_f32_e32 v18, v1, v7
	s_waitcnt vmcnt(3)
	v_fmac_f32_e32 v26, v0, v21
	s_waitcnt vmcnt(1)
	v_pk_fma_f32 v[66:67], v[2:3], v[28:29], v[18:19] op_sel_hi:[0,1,1]
	s_waitcnt vmcnt(0)
	v_fmac_f32_e32 v16, v0, v5
	buffer_load_dword v7, off, s[0:3], 0 offset:1464
	buffer_load_dword v5, off, s[0:3], 0 offset:1456
	s_waitcnt vmcnt(0)
	v_fmac_f32_e32 v17, v0, v5
	buffer_load_dword v5, off, s[0:3], 0 offset:1460
	s_waitcnt vmcnt(0)
	v_pk_fma_f32 v[4:5], v[0:1], v[4:5], v[16:17] op_sel:[1,0,0]
	v_pk_fma_f32 v[68:69], v[2:3], v[6:7], v[4:5] op_sel_hi:[0,1,1]
	buffer_load_dword v4, off, s[0:3], 0 offset:1504
	s_waitcnt vmcnt(0)
	v_fmac_f32_e32 v22, v0, v4
	buffer_load_dword v15, off, s[0:3], 0 offset:1560
	buffer_load_dword v4, off, s[0:3], 0 offset:1552
	;; [unrolled: 1-line block ×3, first 2 shown]
	s_waitcnt vmcnt(1)
	v_fmac_f32_e32 v23, v0, v4
	s_waitcnt vmcnt(0)
	v_pk_fma_f32 v[4:5], v[0:1], v[10:11], v[22:23] op_sel:[1,0,0]
	v_pk_fma_f32 v[70:71], v[2:3], v[14:15], v[4:5] op_sel_hi:[0,1,1]
	buffer_load_dword v27, off, s[0:3], 0 offset:1660
	buffer_load_dword v25, off, s[0:3], 0 offset:1656
	;; [unrolled: 1-line block ×4, first 2 shown]
	s_waitcnt vmcnt(1)
	v_fmac_f32_e32 v27, v0, v4
	s_waitcnt vmcnt(0)
	v_pk_fma_f32 v[4:5], v[0:1], v[20:21], v[26:27] op_sel:[1,0,0]
	v_pk_fma_f32 v[72:73], v[2:3], v[24:25], v[4:5] op_sel_hi:[0,1,1]
	buffer_load_dword v4, off, s[0:3], 0 offset:1328
	buffer_load_dword v7, off, s[0:3], 0 offset:1356
	;; [unrolled: 1-line block ×5, first 2 shown]
	s_waitcnt vmcnt(1)
	v_fmac_f32_e32 v11, v0, v4
	buffer_load_dword v4, off, s[0:3], 0 offset:1344
	buffer_load_dword v56, off, s[0:3], 0 offset:1784 ; 4-byte Folded Reload
	buffer_load_dword v57, off, s[0:3], 0 offset:1788 ; 4-byte Folded Reload
	s_waitcnt vmcnt(3)
	v_fmac_f32_e32 v11, v1, v6
	s_waitcnt vmcnt(2)
	v_fmac_f32_e32 v7, v0, v4
	buffer_load_dword v57, off, s[0:3], 0 offset:1368
	buffer_load_dword v4, off, s[0:3], 0 offset:1360
	;; [unrolled: 1-line block ×4, first 2 shown]
	buffer_load_dword v54, off, s[0:3], 0 offset:1776 ; 4-byte Folded Reload
	buffer_load_dword v55, off, s[0:3], 0 offset:1780 ; 4-byte Folded Reload
	v_fmac_f32_e32 v7, v1, v5
	buffer_load_dword v55, off, s[0:3], 0 offset:1364
	v_ashrrev_i32_e32 v5, 31, v3
	s_waitcnt vmcnt(5)
	v_fmac_f32_e32 v33, v0, v4
	v_mov_b32_e32 v4, v3
	buffer_load_dword v3, off, s[0:3], 0 offset:2160 ; 4-byte Folded Reload
	buffer_load_dword v6, off, s[0:3], 0 offset:2724 ; 4-byte Folded Reload
	s_waitcnt vmcnt(0)
	v_fma_f32 v14, v0, v6, v3
	buffer_load_dword v3, off, s[0:3], 0 offset:2340 ; 4-byte Folded Reload
	s_waitcnt vmcnt(0)
	v_fmac_f32_e32 v14, v1, v3
	buffer_load_dword v3, off, s[0:3], 0 offset:2188 ; 4-byte Folded Reload
	buffer_load_dword v6, off, s[0:3], 0 offset:2728 ; 4-byte Folded Reload
	s_waitcnt vmcnt(0)
	v_fma_f32 v16, v0, v6, v3
	buffer_load_dword v3, off, s[0:3], 0 offset:2344 ; 4-byte Folded Reload
	s_waitcnt vmcnt(0)
	v_fmac_f32_e32 v16, v1, v3
	buffer_load_dword v3, off, s[0:3], 0 offset:2172 ; 4-byte Folded Reload
	buffer_load_dword v6, off, s[0:3], 0 offset:2736 ; 4-byte Folded Reload
	s_waitcnt vmcnt(0)
	v_fma_f32 v15, v0, v6, v3
	buffer_load_dword v3, off, s[0:3], 0 offset:2348 ; 4-byte Folded Reload
	buffer_load_dword v18, off, s[0:3], 0 offset:2164 ; 4-byte Folded Reload
	buffer_load_dword v19, off, s[0:3], 0 offset:2168 ; 4-byte Folded Reload
	s_waitcnt vmcnt(2)
	v_fmac_f32_e32 v15, v1, v3
	s_waitcnt vmcnt(0)
	v_pk_fma_f32 v[76:77], v[2:3], v[18:19], v[14:15] op_sel_hi:[0,1,1]
	buffer_load_dword v3, off, s[0:3], 0 offset:2200 ; 4-byte Folded Reload
	buffer_load_dword v6, off, s[0:3], 0 offset:2740 ; 4-byte Folded Reload
	s_waitcnt vmcnt(0)
	v_fma_f32 v17, v0, v6, v3
	buffer_load_dword v3, off, s[0:3], 0 offset:2352 ; 4-byte Folded Reload
	buffer_load_dword v14, off, s[0:3], 0 offset:2192 ; 4-byte Folded Reload
	buffer_load_dword v15, off, s[0:3], 0 offset:2196 ; 4-byte Folded Reload
	s_waitcnt vmcnt(2)
	v_fmac_f32_e32 v17, v1, v3
	s_waitcnt vmcnt(0)
	v_pk_fma_f32 v[78:79], v[2:3], v[14:15], v[16:17] op_sel_hi:[0,1,1]
	buffer_load_dword v3, off, s[0:3], 0 offset:2176 ; 4-byte Folded Reload
	buffer_load_dword v6, off, s[0:3], 0 offset:2732 ; 4-byte Folded Reload
	s_waitcnt vmcnt(0)
	v_fma_f32 v14, v0, v6, v3
	buffer_load_dword v3, off, s[0:3], 0 offset:2204 ; 4-byte Folded Reload
	buffer_load_dword v6, off, s[0:3], 0 offset:2744 ; 4-byte Folded Reload
	s_waitcnt vmcnt(0)
	v_fma_f32 v15, v0, v6, v3
	buffer_load_dword v3, off, s[0:3], 0 offset:2208 ; 4-byte Folded Reload
	buffer_load_dword v6, off, s[0:3], 0 offset:2748 ; 4-byte Folded Reload
	s_waitcnt vmcnt(0)
	v_fma_f32 v16, v0, v6, v3
	buffer_load_dword v3, off, s[0:3], 0 offset:2356 ; 4-byte Folded Reload
	s_waitcnt vmcnt(0)
	v_fmac_f32_e32 v16, v1, v3
	buffer_load_dword v3, off, s[0:3], 0 offset:2220 ; 4-byte Folded Reload
	buffer_load_dword v6, off, s[0:3], 0 offset:2752 ; 4-byte Folded Reload
	s_waitcnt vmcnt(0)
	v_fma_f32 v18, v0, v6, v3
	buffer_load_dword v3, off, s[0:3], 0 offset:2360 ; 4-byte Folded Reload
	s_waitcnt vmcnt(0)
	v_fmac_f32_e32 v18, v1, v3
	buffer_load_dword v3, off, s[0:3], 0 offset:2364 ; 4-byte Folded Reload
	buffer_load_dword v6, off, s[0:3], 0 offset:2368 ; 4-byte Folded Reload
	s_waitcnt vmcnt(0)
	v_fma_f32 v17, v0, v6, v3
	buffer_load_dword v3, off, s[0:3], 0 offset:2232 ; 4-byte Folded Reload
	buffer_load_dword v20, off, s[0:3], 0 offset:2212 ; 4-byte Folded Reload
	buffer_load_dword v21, off, s[0:3], 0 offset:2216 ; 4-byte Folded Reload
	s_waitcnt vmcnt(2)
	v_fmac_f32_e32 v17, v1, v3
	s_waitcnt vmcnt(0)
	v_pk_fma_f32 v[80:81], v[2:3], v[20:21], v[16:17] op_sel_hi:[0,1,1]
	buffer_load_dword v3, off, s[0:3], 0 offset:2384 ; 4-byte Folded Reload
	buffer_load_dword v6, off, s[0:3], 0 offset:2760 ; 4-byte Folded Reload
	s_waitcnt vmcnt(0)
	v_fma_f32 v19, v0, v6, v3
	buffer_load_dword v3, off, s[0:3], 0 offset:2764 ; 4-byte Folded Reload
	buffer_load_dword v16, off, s[0:3], 0 offset:2224 ; 4-byte Folded Reload
	buffer_load_dword v17, off, s[0:3], 0 offset:2228 ; 4-byte Folded Reload
	s_waitcnt vmcnt(2)
	v_fmac_f32_e32 v19, v1, v3
	s_waitcnt vmcnt(0)
	v_pk_fma_f32 v[84:85], v[2:3], v[16:17], v[18:19] op_sel_hi:[0,1,1]
	buffer_load_dword v3, off, s[0:3], 0 offset:2372 ; 4-byte Folded Reload
	buffer_load_dword v6, off, s[0:3], 0 offset:2756 ; 4-byte Folded Reload
	s_waitcnt vmcnt(0)
	v_fma_f32 v16, v0, v6, v3
	buffer_load_dword v3, off, s[0:3], 0 offset:2376 ; 4-byte Folded Reload
	buffer_load_dword v6, off, s[0:3], 0 offset:2380 ; 4-byte Folded Reload
	s_waitcnt vmcnt(0)
	v_fma_f32 v17, v0, v6, v3
	;; [unrolled: 44-line block ×7, first 2 shown]
	buffer_load_dword v3, off, s[0:3], 0 offset:2572 ; 4-byte Folded Reload
	buffer_load_dword v6, off, s[0:3], 0 offset:2868 ; 4-byte Folded Reload
	s_waitcnt vmcnt(0)
	v_fma_f32 v28, v0, v6, v3
	buffer_load_dword v3, off, s[0:3], 0 offset:2872 ; 4-byte Folded Reload
	s_waitcnt vmcnt(0)
	v_fmac_f32_e32 v28, v1, v3
	buffer_load_dword v3, off, s[0:3], 0 offset:2564 ; 4-byte Folded Reload
	buffer_load_dword v6, off, s[0:3], 0 offset:2568 ; 4-byte Folded Reload
	s_waitcnt vmcnt(0)
	v_fma_f32 v36, v0, v6, v3
	buffer_load_dword v3, off, s[0:3], 0 offset:2272 ; 4-byte Folded Reload
	s_waitcnt vmcnt(0)
	v_fmac_f32_e32 v36, v1, v3
	buffer_load_dword v3, off, s[0:3], 0 offset:2300 ; 4-byte Folded Reload
	buffer_load_dword v6, off, s[0:3], 0 offset:2576 ; 4-byte Folded Reload
	s_waitcnt vmcnt(0)
	v_fma_f32 v29, v0, v6, v3
	buffer_load_dword v3, off, s[0:3], 0 offset:2304 ; 4-byte Folded Reload
	buffer_load_dword v40, off, s[0:3], 0 offset:2008 ; 4-byte Folded Reload
	buffer_load_dword v41, off, s[0:3], 0 offset:2012 ; 4-byte Folded Reload
	s_waitcnt vmcnt(2)
	v_fmac_f32_e32 v29, v1, v3
	s_waitcnt vmcnt(0)
	v_pk_fma_f32 v[28:29], v[2:3], v[40:41], v[28:29] op_sel_hi:[0,1,1]
	buffer_store_dword v28, off, s[0:3], 0 offset:1664 ; 4-byte Folded Spill
	s_nop 0
	buffer_store_dword v29, off, s[0:3], 0 offset:1668 ; 4-byte Folded Spill
	buffer_load_dword v3, off, s[0:3], 0 offset:2592 ; 4-byte Folded Reload
	buffer_load_dword v6, off, s[0:3], 0 offset:2880 ; 4-byte Folded Reload
	s_waitcnt vmcnt(0)
	v_fma_f32 v37, v0, v6, v3
	buffer_load_dword v3, off, s[0:3], 0 offset:2884 ; 4-byte Folded Reload
	buffer_load_dword v28, off, s[0:3], 0 offset:2000 ; 4-byte Folded Reload
	buffer_load_dword v29, off, s[0:3], 0 offset:2004 ; 4-byte Folded Reload
	s_waitcnt vmcnt(2)
	v_fmac_f32_e32 v37, v1, v3
	s_waitcnt vmcnt(0)
	v_pk_fma_f32 v[28:29], v[2:3], v[28:29], v[36:37] op_sel_hi:[0,1,1]
	buffer_store_dword v28, off, s[0:3], 0 offset:1672 ; 4-byte Folded Spill
	s_nop 0
	buffer_store_dword v29, off, s[0:3], 0 offset:1676 ; 4-byte Folded Spill
	buffer_load_dword v3, off, s[0:3], 0 offset:2580 ; 4-byte Folded Reload
	buffer_load_dword v6, off, s[0:3], 0 offset:2876 ; 4-byte Folded Reload
	s_waitcnt vmcnt(0)
	v_fma_f32 v28, v0, v6, v3
	buffer_load_dword v3, off, s[0:3], 0 offset:2584 ; 4-byte Folded Reload
	buffer_load_dword v6, off, s[0:3], 0 offset:2588 ; 4-byte Folded Reload
	s_waitcnt vmcnt(0)
	v_fma_f32 v29, v0, v6, v3
	buffer_load_dword v3, off, s[0:3], 0 offset:2604 ; 4-byte Folded Reload
	buffer_load_dword v6, off, s[0:3], 0 offset:2888 ; 4-byte Folded Reload
	s_waitcnt vmcnt(0)
	v_fma_f32 v36, v0, v6, v3
	buffer_load_dword v3, off, s[0:3], 0 offset:2892 ; 4-byte Folded Reload
	s_waitcnt vmcnt(0)
	v_fmac_f32_e32 v36, v1, v3
	buffer_load_dword v3, off, s[0:3], 0 offset:2596 ; 4-byte Folded Reload
	buffer_load_dword v6, off, s[0:3], 0 offset:2600 ; 4-byte Folded Reload
	s_waitcnt vmcnt(0)
	v_fma_f32 v40, v0, v6, v3
	buffer_load_dword v3, off, s[0:3], 0 offset:2276 ; 4-byte Folded Reload
	s_waitcnt vmcnt(0)
	v_fmac_f32_e32 v40, v1, v3
	buffer_load_dword v3, off, s[0:3], 0 offset:2308 ; 4-byte Folded Reload
	buffer_load_dword v6, off, s[0:3], 0 offset:2608 ; 4-byte Folded Reload
	s_waitcnt vmcnt(0)
	v_fma_f32 v37, v0, v6, v3
	buffer_load_dword v3, off, s[0:3], 0 offset:2312 ; 4-byte Folded Reload
	buffer_load_dword v42, off, s[0:3], 0 offset:2040 ; 4-byte Folded Reload
	buffer_load_dword v43, off, s[0:3], 0 offset:2044 ; 4-byte Folded Reload
	s_waitcnt vmcnt(2)
	v_fmac_f32_e32 v37, v1, v3
	s_waitcnt vmcnt(0)
	v_pk_fma_f32 v[36:37], v[2:3], v[42:43], v[36:37] op_sel_hi:[0,1,1]
	buffer_store_dword v36, off, s[0:3], 0 offset:1680 ; 4-byte Folded Spill
	s_nop 0
	buffer_store_dword v37, off, s[0:3], 0 offset:1684 ; 4-byte Folded Spill
	buffer_load_dword v3, off, s[0:3], 0 offset:2624 ; 4-byte Folded Reload
	buffer_load_dword v6, off, s[0:3], 0 offset:2900 ; 4-byte Folded Reload
	s_waitcnt vmcnt(0)
	v_fma_f32 v41, v0, v6, v3
	buffer_load_dword v3, off, s[0:3], 0 offset:2904 ; 4-byte Folded Reload
	buffer_load_dword v36, off, s[0:3], 0 offset:2032 ; 4-byte Folded Reload
	buffer_load_dword v37, off, s[0:3], 0 offset:2036 ; 4-byte Folded Reload
	s_waitcnt vmcnt(2)
	v_fmac_f32_e32 v41, v1, v3
	s_waitcnt vmcnt(0)
	v_pk_fma_f32 v[36:37], v[2:3], v[36:37], v[40:41] op_sel_hi:[0,1,1]
	buffer_store_dword v36, off, s[0:3], 0 offset:1688 ; 4-byte Folded Spill
	s_nop 0
	buffer_store_dword v37, off, s[0:3], 0 offset:1692 ; 4-byte Folded Spill
	buffer_load_dword v3, off, s[0:3], 0 offset:2612 ; 4-byte Folded Reload
	buffer_load_dword v6, off, s[0:3], 0 offset:2896 ; 4-byte Folded Reload
	s_waitcnt vmcnt(0)
	v_fma_f32 v36, v0, v6, v3
	buffer_load_dword v3, off, s[0:3], 0 offset:2616 ; 4-byte Folded Reload
	buffer_load_dword v6, off, s[0:3], 0 offset:2620 ; 4-byte Folded Reload
	s_waitcnt vmcnt(0)
	v_fma_f32 v37, v0, v6, v3
	;; [unrolled: 50-line block ×5, first 2 shown]
	buffer_load_dword v3, off, s[0:3], 0 offset:2968 ; 4-byte Folded Reload
	buffer_load_dword v6, off, s[0:3], 0 offset:2976 ; 4-byte Folded Reload
	s_waitcnt vmcnt(0)
	v_fma_f32 v10, v0, v3, v6
	buffer_load_dword v3, off, s[0:3], 0 offset:2972 ; 4-byte Folded Reload
	s_waitcnt vmcnt(0)
	v_fmac_f32_e32 v10, v1, v3
	buffer_load_dword v3, off, s[0:3], 0 offset:2980 ; 4-byte Folded Reload
	buffer_load_dword v6, off, s[0:3], 0 offset:2996 ; 4-byte Folded Reload
	s_waitcnt vmcnt(0)
	v_fma_f32 v6, v0, v3, v6
	buffer_load_dword v3, off, s[0:3], 0 offset:2984 ; 4-byte Folded Reload
	s_waitcnt vmcnt(0)
	v_fmac_f32_e32 v6, v1, v3
	buffer_load_dword v3, off, s[0:3], 0 offset:2988 ; 4-byte Folded Reload
	buffer_load_dword v32, off, s[0:3], 0 offset:2992 ; 4-byte Folded Reload
	s_nop 0
	buffer_store_dword v38, off, s[0:3], 0 offset:1808 ; 4-byte Folded Spill
	s_nop 0
	buffer_store_dword v39, off, s[0:3], 0 offset:1812 ; 4-byte Folded Spill
	s_waitcnt vmcnt(3)
	v_pk_fma_f32 v[10:11], v[2:3], v[104:105], v[10:11] op_sel_hi:[0,1,1]
	buffer_store_dword v10, off, s[0:3], 0 offset:1744 ; 4-byte Folded Spill
	s_nop 0
	buffer_store_dword v11, off, s[0:3], 0 offset:1748 ; 4-byte Folded Spill
	v_mov_b32_e32 v10, v52
	v_pk_fma_f32 v[6:7], v[2:3], v[52:53], v[6:7] op_sel_hi:[0,1,1]
	buffer_store_dword v10, off, s[0:3], 0 offset:1800 ; 4-byte Folded Spill
	s_nop 0
	buffer_store_dword v11, off, s[0:3], 0 offset:1804 ; 4-byte Folded Spill
	buffer_store_dword v6, off, s[0:3], 0 offset:1752 ; 4-byte Folded Spill
	s_nop 0
	buffer_store_dword v7, off, s[0:3], 0 offset:1756 ; 4-byte Folded Spill
	buffer_load_dword v6, off, s[0:3], 0 offset:1816 ; 4-byte Folded Reload
	s_nop 0
	buffer_load_dword v7, off, s[0:3], 0 offset:1820 ; 4-byte Folded Reload
	buffer_load_dword v10, off, s[0:3], 0 offset:2180 ; 4-byte Folded Reload
	;; [unrolled: 1-line block ×3, first 2 shown]
	s_waitcnt vmcnt(12)
	v_fma_f32 v32, v0, v32, v3
	s_waitcnt vmcnt(2)
	v_pk_fma_f32 v[6:7], v[0:1], v[6:7], v[14:15] op_sel:[1,0,0]
	s_waitcnt vmcnt(0)
	v_pk_fma_f32 v[6:7], v[2:3], v[10:11], v[6:7] op_sel_hi:[0,1,1]
	buffer_store_dword v6, off, s[0:3], 0 offset:1760 ; 4-byte Folded Spill
	s_nop 0
	buffer_store_dword v7, off, s[0:3], 0 offset:1764 ; 4-byte Folded Spill
	buffer_load_dword v6, off, s[0:3], 0 offset:1824 ; 4-byte Folded Reload
	s_nop 0
	buffer_load_dword v7, off, s[0:3], 0 offset:1828 ; 4-byte Folded Reload
	buffer_load_dword v10, off, s[0:3], 0 offset:1832 ; 4-byte Folded Reload
	;; [unrolled: 1-line block ×3, first 2 shown]
	s_waitcnt vmcnt(2)
	v_pk_fma_f32 v[6:7], v[0:1], v[6:7], v[16:17] op_sel:[1,0,0]
	s_waitcnt vmcnt(0)
	v_pk_fma_f32 v[6:7], v[2:3], v[10:11], v[6:7] op_sel_hi:[0,1,1]
	buffer_store_dword v6, off, s[0:3], 0 offset:1768 ; 4-byte Folded Spill
	s_nop 0
	buffer_store_dword v7, off, s[0:3], 0 offset:1772 ; 4-byte Folded Spill
	buffer_load_dword v6, off, s[0:3], 0 offset:1856 ; 4-byte Folded Reload
	s_nop 0
	buffer_load_dword v7, off, s[0:3], 0 offset:1860 ; 4-byte Folded Reload
	buffer_load_dword v10, off, s[0:3], 0 offset:1864 ; 4-byte Folded Reload
	buffer_load_dword v11, off, s[0:3], 0 offset:1868 ; 4-byte Folded Reload
	s_waitcnt vmcnt(2)
	v_pk_fma_f32 v[6:7], v[0:1], v[6:7], v[18:19] op_sel:[1,0,0]
	s_waitcnt vmcnt(0)
	v_pk_fma_f32 v[104:105], v[2:3], v[10:11], v[6:7] op_sel_hi:[0,1,1]
	buffer_load_dword v6, off, s[0:3], 0 offset:1888 ; 4-byte Folded Reload
	buffer_load_dword v7, off, s[0:3], 0 offset:1892 ; 4-byte Folded Reload
	buffer_load_dword v10, off, s[0:3], 0 offset:1896 ; 4-byte Folded Reload
	buffer_load_dword v11, off, s[0:3], 0 offset:1900 ; 4-byte Folded Reload
	s_waitcnt vmcnt(2)
	v_pk_fma_f32 v[6:7], v[0:1], v[6:7], v[20:21] op_sel:[1,0,0]
	s_waitcnt vmcnt(0)
	v_pk_fma_f32 v[10:11], v[2:3], v[10:11], v[6:7] op_sel_hi:[0,1,1]
	buffer_load_dword v6, off, s[0:3], 0 offset:1920 ; 4-byte Folded Reload
	;; [unrolled: 8-line block ×9, first 2 shown]
	buffer_load_dword v7, off, s[0:3], 0 offset:2148 ; 4-byte Folded Reload
	buffer_load_dword v28, off, s[0:3], 0 offset:2152 ; 4-byte Folded Reload
	;; [unrolled: 1-line block ×3, first 2 shown]
	s_waitcnt vmcnt(2)
	v_pk_fma_f32 v[6:7], v[0:1], v[6:7], v[44:45] op_sel:[1,0,0]
	s_waitcnt vmcnt(0)
	v_pk_fma_f32 v[28:29], v[2:3], v[28:29], v[6:7] op_sel_hi:[0,1,1]
	v_mov_b32_e32 v6, v54
	buffer_store_dword v6, off, s[0:3], 0 offset:1776 ; 4-byte Folded Spill
	s_nop 0
	buffer_store_dword v7, off, s[0:3], 0 offset:1780 ; 4-byte Folded Spill
	v_pk_fma_f32 v[0:1], v[0:1], v[54:55], v[32:33] op_sel:[1,0,0]
	v_pk_fma_f32 v[32:33], v[2:3], v[56:57], v[0:1] op_sel_hi:[0,1,1]
	v_lshlrev_b64 v[0:1], 4, v[4:5]
	v_mov_b32_e32 v6, v56
	v_mov_b32_e32 v2, s27
	v_add_co_u32_e32 v0, vcc, s26, v0
	buffer_store_dword v6, off, s[0:3], 0 offset:1784 ; 4-byte Folded Spill
	s_nop 0
	buffer_store_dword v7, off, s[0:3], 0 offset:1788 ; 4-byte Folded Spill
	v_addc_co_u32_e32 v1, vcc, v2, v1, vcc
	buffer_load_dword v56, off, s[0:3], 0 offset:1792 ; 4-byte Folded Reload
	buffer_load_dword v57, off, s[0:3], 0 offset:1796 ; 4-byte Folded Reload
	v_mov_b32_e32 v54, 0x3e800000
	global_load_dwordx4 v[0:3], v[0:1], off
	s_waitcnt vmcnt(0)
	v_cmp_eq_u32_e64 s[8:9], s41, v0
	v_cmp_eq_u32_e64 s[10:11], s42, v0
	v_cmp_gt_f32_e64 s[12:13], 0, v2
	v_mov_b32_e32 v0, 0x40b00000
	v_cndmask_b32_e64 v41, 1.0, v0, s[12:13]
	v_mov_b32_e32 v0, 0xff7fffff
	v_cmp_lt_f32_e64 s[6:7], 0, v2
	v_cndmask_b32_e64 v37, v0, 1.0, s[12:13]
.LBB5_28:                               ;   Parent Loop BB5_27 Depth=1
                                        ; =>  This Inner Loop Header: Depth=2
	global_load_dwordx4 v[4:7], v34, s[34:35] offset:-8
	v_mov_b32_e32 v0, s27
	s_waitcnt vmcnt(0)
	v_ashrrev_i32_e32 v43, 31, v7
	v_mov_b32_e32 v42, v7
	v_lshlrev_b64 v[42:43], 4, v[42:43]
	v_add_co_u32_e32 v42, vcc, s26, v42
	v_addc_co_u32_e32 v43, vcc, v0, v43, vcc
	global_load_dwordx4 v[50:53], v[42:43], off
	s_waitcnt vmcnt(0)
	v_add_f32_e32 v40, v1, v51
	v_div_scale_f32 v0, s[4:5], v40, v40, 1.0
	v_rcp_f32_e32 v7, v0
	v_cmp_lt_f32_e64 s[4:5], 0, v52
	s_and_b64 s[4:5], s[4:5], s[12:13]
	v_cmp_neq_f32_e64 s[14:15], 0, v52
	v_fma_f32 v34, -v0, v7, 1.0
	v_fmac_f32_e32 v7, v34, v7
	v_div_scale_f32 v34, vcc, 1.0, v40, 1.0
	v_mul_f32_e32 v36, v34, v7
	v_fma_f32 v38, -v0, v36, v34
	v_fmac_f32_e32 v36, v38, v7
	v_fma_f32 v0, -v0, v36, v34
	v_div_fmas_f32 v0, v0, v7, v36
	v_cmp_eq_u32_e32 vcc, s41, v50
	s_and_b64 vcc, vcc, s[8:9]
	v_cndmask_b32_e64 v46, 2.0, 4.0, vcc
	v_cndmask_b32_e32 v34, 0.5, v54, vcc
	v_cmp_eq_u32_e32 vcc, s42, v50
	s_or_b64 s[36:37], vcc, s[10:11]
	v_cmp_gt_f32_e32 vcc, 0, v52
	v_cndmask_b32_e32 v43, v37, v41, vcc
	v_cndmask_b32_e64 v7, v2, -v2, s[4:5]
	v_div_scale_f32 v36, s[4:5], v43, v43, 1.0
	v_rcp_f32_e32 v38, v36
	s_and_b64 s[18:19], vcc, s[6:7]
	v_div_fixup_f32 v42, v0, v40, 1.0
	v_cndmask_b32_e64 v0, v52, -v52, s[18:19]
	v_fma_f32 v44, -v36, v38, 1.0
	v_fmac_f32_e32 v38, v44, v38
	v_div_scale_f32 v44, vcc, 1.0, v43, 1.0
	v_mul_f32_e32 v45, v44, v38
	v_fma_f32 v47, -v36, v45, v44
	v_fmac_f32_e32 v45, v47, v38
	v_fma_f32 v36, -v36, v45, v44
	v_div_fmas_f32 v36, v36, v38, v45
	v_mul_f32_e32 v38, v3, v53
	buffer_load_dword v52, off, s[0:3], 0 offset:1760 ; 4-byte Folded Reload
	buffer_load_dword v53, off, s[0:3], 0 offset:1764 ; 4-byte Folded Reload
	v_pk_add_f32 v[50:51], v[78:79], v[4:5] op_sel:[0,1] neg_lo:[0,1] neg_hi:[0,1]
	v_pk_add_f32 v[44:45], v[76:77], v[4:5] op_sel_hi:[1,0] neg_lo:[0,1] neg_hi:[0,1]
	v_pk_mul_f32 v[50:51], v[50:51], v[50:51]
	v_pk_fma_f32 v[44:45], v[44:45], v[44:45], v[50:51]
	v_add_f32_e32 v0, v0, v7
	v_div_fixup_f32 v36, v36, v43, 1.0
	s_waitcnt vmcnt(0)
	v_pk_add_f32 v[52:53], v[52:53], v[6:7] op_sel_hi:[1,0] neg_lo:[0,1] neg_hi:[0,1]
	v_pk_fma_f32 v[44:45], v[52:53], v[52:53], v[44:45]
	v_cmp_gt_f32_e32 vcc, s43, v45
	v_mul_f32_e32 v7, 0x4f800000, v45
	v_cndmask_b32_e32 v7, v45, v7, vcc
	v_sqrt_f32_e32 v45, v7
	v_add_u32_e32 v47, -1, v45
	v_fma_f32 v50, -v47, v45, v7
	v_cmp_ge_f32_e64 s[4:5], 0, v50
	v_add_u32_e32 v50, 1, v45
	v_cndmask_b32_e64 v47, v45, v47, s[4:5]
	v_fma_f32 v45, -v50, v45, v7
	v_cmp_lt_f32_e64 s[4:5], 0, v45
	v_cndmask_b32_e64 v45, v47, v50, s[4:5]
	v_mul_f32_e32 v47, 0x37800000, v45
	v_cndmask_b32_e32 v45, v45, v47, vcc
	v_cmp_class_f32_e32 vcc, v7, v35
	v_cndmask_b32_e32 v45, v45, v7, vcc
	v_cmp_gt_f32_e32 vcc, s43, v44
	v_mul_f32_e32 v7, 0x4f800000, v44
	v_cndmask_b32_e32 v7, v44, v7, vcc
	v_sqrt_f32_e32 v44, v7
	v_add_u32_e32 v47, -1, v44
	v_fma_f32 v50, -v47, v44, v7
	v_cmp_ge_f32_e64 s[4:5], 0, v50
	v_add_u32_e32 v50, 1, v44
	v_cndmask_b32_e64 v47, v44, v47, s[4:5]
	v_fma_f32 v44, -v50, v44, v7
	v_cmp_lt_f32_e64 s[4:5], 0, v44
	v_cndmask_b32_e64 v44, v47, v50, s[4:5]
	v_mul_f32_e32 v47, 0x37800000, v44
	v_cndmask_b32_e32 v44, v44, v47, vcc
	v_cmp_class_f32_e32 vcc, v7, v35
	v_cndmask_b32_e32 v44, v44, v7, vcc
	v_pk_add_f32 v[50:51], v[44:45], v[40:41] op_sel_hi:[1,0] neg_lo:[0,1] neg_hi:[0,1]
	v_cmp_gt_f32_e32 vcc, 0, v50
	v_cmp_gt_f32_e64 s[4:5], 0, v51
	v_pk_fma_f32 v[44:45], v[42:43], v[44:45], 1.0 op_sel_hi:[0,1,0] neg_lo:[1,0,0] neg_hi:[1,0,0]
	v_cndmask_b32_e64 v53, 0, v39, s[4:5]
	v_cndmask_b32_e32 v52, 0, v39, vcc
	v_pk_fma_f32 v[44:45], v[44:45], v[52:53], v[110:111]
	v_pk_fma_f32 v[52:53], v[34:35], v[50:51], 1.0 op_sel_hi:[0,1,0] neg_lo:[1,0,0] neg_hi:[1,0,0]
	v_cmp_lt_f32_e64 s[18:19], v50, v46
	v_cmp_lt_f32_e64 s[20:21], v51, v46
	v_cndmask_b32_e64 v53, v53, 1.0, s[4:5]
	v_cndmask_b32_e64 v52, v52, 1.0, vcc
	v_cndmask_b32_e64 v111, 0, 1.0, s[20:21]
	v_cndmask_b32_e64 v110, 0, 1.0, s[18:19]
	v_pk_mul_f32 v[52:53], v[110:111], v[52:53]
	v_pk_mul_f32 v[52:53], v[38:39], v[52:53] op_sel_hi:[0,1]
	v_cmp_lt_f32_e64 s[18:19], v51, v43
	v_cmp_lt_f32_e64 s[20:21], v50, v43
	v_cndmask_b32_e64 v53, v53, -|v53|, s[36:37]
	v_cndmask_b32_e64 v52, v52, -|v52|, s[36:37]
	s_and_b64 s[20:21], s[14:15], s[20:21]
	s_and_b64 s[18:19], s[14:15], s[18:19]
	v_pk_fma_f32 v[44:45], v[52:53], s[30:31], v[44:45] op_sel_hi:[1,0,1]
	v_pk_fma_f32 v[52:53], v[36:37], v[50:51], 1.0 op_sel_hi:[0,1,0] neg_lo:[1,0,0] neg_hi:[1,0,0]
	v_cndmask_b32_e64 v51, 0, 1.0, s[18:19]
	v_cndmask_b32_e64 v50, 0, 1.0, s[20:21]
	v_pk_mul_f32 v[50:51], v[0:1], v[50:51] op_sel_hi:[0,1]
	v_cndmask_b32_e64 v53, v53, 1.0, s[4:5]
	v_cndmask_b32_e64 v52, v52, 1.0, vcc
	v_pk_fma_f32 v[110:111], v[52:53], v[50:51], v[44:45]
	buffer_load_dword v52, off, s[0:3], 0 offset:1768 ; 4-byte Folded Reload
	buffer_load_dword v53, off, s[0:3], 0 offset:1772 ; 4-byte Folded Reload
	v_pk_add_f32 v[50:51], v[84:85], v[4:5] op_sel:[0,1] neg_lo:[0,1] neg_hi:[0,1]
	v_pk_add_f32 v[44:45], v[80:81], v[4:5] op_sel_hi:[1,0] neg_lo:[0,1] neg_hi:[0,1]
	v_pk_mul_f32 v[50:51], v[50:51], v[50:51]
	v_pk_fma_f32 v[44:45], v[44:45], v[44:45], v[50:51]
	s_waitcnt vmcnt(0)
	v_pk_add_f32 v[52:53], v[52:53], v[6:7] op_sel_hi:[1,0] neg_lo:[0,1] neg_hi:[0,1]
	v_pk_fma_f32 v[44:45], v[52:53], v[52:53], v[44:45]
	v_cmp_gt_f32_e32 vcc, s43, v45
	v_mul_f32_e32 v7, 0x4f800000, v45
	v_cndmask_b32_e32 v7, v45, v7, vcc
	v_sqrt_f32_e32 v45, v7
	v_add_u32_e32 v47, -1, v45
	v_fma_f32 v50, -v47, v45, v7
	v_cmp_ge_f32_e64 s[4:5], 0, v50
	v_add_u32_e32 v50, 1, v45
	v_cndmask_b32_e64 v47, v45, v47, s[4:5]
	v_fma_f32 v45, -v50, v45, v7
	v_cmp_lt_f32_e64 s[4:5], 0, v45
	v_cndmask_b32_e64 v45, v47, v50, s[4:5]
	v_mul_f32_e32 v47, 0x37800000, v45
	v_cndmask_b32_e32 v45, v45, v47, vcc
	v_cmp_class_f32_e32 vcc, v7, v35
	v_cndmask_b32_e32 v45, v45, v7, vcc
	v_cmp_gt_f32_e32 vcc, s43, v44
	v_mul_f32_e32 v7, 0x4f800000, v44
	v_cndmask_b32_e32 v7, v44, v7, vcc
	v_sqrt_f32_e32 v44, v7
	v_add_u32_e32 v47, -1, v44
	v_fma_f32 v50, -v47, v44, v7
	v_cmp_ge_f32_e64 s[4:5], 0, v50
	v_add_u32_e32 v50, 1, v44
	v_cndmask_b32_e64 v47, v44, v47, s[4:5]
	v_fma_f32 v44, -v50, v44, v7
	v_cmp_lt_f32_e64 s[4:5], 0, v44
	v_cndmask_b32_e64 v44, v47, v50, s[4:5]
	v_mul_f32_e32 v47, 0x37800000, v44
	v_cndmask_b32_e32 v44, v44, v47, vcc
	v_cmp_class_f32_e32 vcc, v7, v35
	v_cndmask_b32_e32 v44, v44, v7, vcc
	v_pk_add_f32 v[50:51], v[44:45], v[40:41] op_sel_hi:[1,0] neg_lo:[0,1] neg_hi:[0,1]
	v_cmp_gt_f32_e32 vcc, 0, v50
	v_cmp_gt_f32_e64 s[4:5], 0, v51
	v_pk_fma_f32 v[44:45], v[42:43], v[44:45], 1.0 op_sel_hi:[0,1,0] neg_lo:[1,0,0] neg_hi:[1,0,0]
	v_cndmask_b32_e64 v53, 0, v39, s[4:5]
	v_cndmask_b32_e32 v52, 0, v39, vcc
	v_pk_fma_f32 v[44:45], v[44:45], v[52:53], v[106:107]
	v_pk_fma_f32 v[52:53], v[34:35], v[50:51], 1.0 op_sel_hi:[0,1,0] neg_lo:[1,0,0] neg_hi:[1,0,0]
	v_cmp_lt_f32_e64 s[18:19], v50, v46
	v_cmp_lt_f32_e64 s[20:21], v51, v46
	v_cndmask_b32_e64 v53, v53, 1.0, s[4:5]
	v_cndmask_b32_e64 v52, v52, 1.0, vcc
	v_cndmask_b32_e64 v107, 0, 1.0, s[20:21]
	v_cndmask_b32_e64 v106, 0, 1.0, s[18:19]
	v_pk_mul_f32 v[52:53], v[106:107], v[52:53]
	v_pk_mul_f32 v[52:53], v[38:39], v[52:53] op_sel_hi:[0,1]
	v_cmp_lt_f32_e64 s[18:19], v51, v43
	v_cmp_lt_f32_e64 s[20:21], v50, v43
	v_cndmask_b32_e64 v53, v53, -|v53|, s[36:37]
	v_cndmask_b32_e64 v52, v52, -|v52|, s[36:37]
	s_and_b64 s[20:21], s[14:15], s[20:21]
	s_and_b64 s[18:19], s[14:15], s[18:19]
	v_pk_fma_f32 v[44:45], v[52:53], s[30:31], v[44:45] op_sel_hi:[1,0,1]
	v_pk_fma_f32 v[52:53], v[36:37], v[50:51], 1.0 op_sel_hi:[0,1,0] neg_lo:[1,0,0] neg_hi:[1,0,0]
	v_cndmask_b32_e64 v51, 0, 1.0, s[18:19]
	v_cndmask_b32_e64 v50, 0, 1.0, s[20:21]
	v_pk_mul_f32 v[50:51], v[0:1], v[50:51] op_sel_hi:[0,1]
	v_cndmask_b32_e64 v53, v53, 1.0, s[4:5]
	v_cndmask_b32_e64 v52, v52, 1.0, vcc
	v_pk_fma_f32 v[106:107], v[52:53], v[50:51], v[44:45]
	v_pk_add_f32 v[50:51], v[88:89], v[4:5] op_sel:[0,1] neg_lo:[0,1] neg_hi:[0,1]
	v_pk_add_f32 v[44:45], v[86:87], v[4:5] op_sel_hi:[1,0] neg_lo:[0,1] neg_hi:[0,1]
	v_pk_mul_f32 v[50:51], v[50:51], v[50:51]
	v_pk_add_f32 v[52:53], v[104:105], v[6:7] op_sel_hi:[1,0] neg_lo:[0,1] neg_hi:[0,1]
	v_pk_fma_f32 v[44:45], v[44:45], v[44:45], v[50:51]
	v_pk_fma_f32 v[44:45], v[52:53], v[52:53], v[44:45]
	v_cmp_gt_f32_e32 vcc, s43, v45
	v_mul_f32_e32 v7, 0x4f800000, v45
	v_cndmask_b32_e32 v7, v45, v7, vcc
	v_sqrt_f32_e32 v45, v7
	v_add_u32_e32 v47, -1, v45
	v_fma_f32 v50, -v47, v45, v7
	v_cmp_ge_f32_e64 s[4:5], 0, v50
	v_add_u32_e32 v50, 1, v45
	v_cndmask_b32_e64 v47, v45, v47, s[4:5]
	v_fma_f32 v45, -v50, v45, v7
	v_cmp_lt_f32_e64 s[4:5], 0, v45
	v_cndmask_b32_e64 v45, v47, v50, s[4:5]
	v_mul_f32_e32 v47, 0x37800000, v45
	v_cndmask_b32_e32 v45, v45, v47, vcc
	v_cmp_class_f32_e32 vcc, v7, v35
	v_cndmask_b32_e32 v45, v45, v7, vcc
	v_cmp_gt_f32_e32 vcc, s43, v44
	v_mul_f32_e32 v7, 0x4f800000, v44
	v_cndmask_b32_e32 v7, v44, v7, vcc
	v_sqrt_f32_e32 v44, v7
	v_add_u32_e32 v47, -1, v44
	v_fma_f32 v50, -v47, v44, v7
	v_cmp_ge_f32_e64 s[4:5], 0, v50
	v_add_u32_e32 v50, 1, v44
	v_cndmask_b32_e64 v47, v44, v47, s[4:5]
	v_fma_f32 v44, -v50, v44, v7
	v_cmp_lt_f32_e64 s[4:5], 0, v44
	v_cndmask_b32_e64 v44, v47, v50, s[4:5]
	v_mul_f32_e32 v47, 0x37800000, v44
	v_cndmask_b32_e32 v44, v44, v47, vcc
	v_cmp_class_f32_e32 vcc, v7, v35
	v_cndmask_b32_e32 v44, v44, v7, vcc
	v_pk_add_f32 v[50:51], v[44:45], v[40:41] op_sel_hi:[1,0] neg_lo:[0,1] neg_hi:[0,1]
	v_cmp_gt_f32_e32 vcc, 0, v50
	v_cmp_gt_f32_e64 s[4:5], 0, v51
	v_pk_fma_f32 v[44:45], v[42:43], v[44:45], 1.0 op_sel_hi:[0,1,0] neg_lo:[1,0,0] neg_hi:[1,0,0]
	v_cndmask_b32_e64 v53, 0, v39, s[4:5]
	v_cndmask_b32_e32 v52, 0, v39, vcc
	v_pk_fma_f32 v[44:45], v[44:45], v[52:53], v[102:103]
	v_pk_fma_f32 v[52:53], v[34:35], v[50:51], 1.0 op_sel_hi:[0,1,0] neg_lo:[1,0,0] neg_hi:[1,0,0]
	v_cmp_lt_f32_e64 s[18:19], v50, v46
	v_cmp_lt_f32_e64 s[20:21], v51, v46
	v_cndmask_b32_e64 v53, v53, 1.0, s[4:5]
	v_cndmask_b32_e64 v52, v52, 1.0, vcc
	v_cndmask_b32_e64 v103, 0, 1.0, s[20:21]
	v_cndmask_b32_e64 v102, 0, 1.0, s[18:19]
	v_pk_mul_f32 v[52:53], v[102:103], v[52:53]
	v_pk_mul_f32 v[52:53], v[38:39], v[52:53] op_sel_hi:[0,1]
	v_cmp_lt_f32_e64 s[18:19], v51, v43
	v_cmp_lt_f32_e64 s[20:21], v50, v43
	v_cndmask_b32_e64 v53, v53, -|v53|, s[36:37]
	v_cndmask_b32_e64 v52, v52, -|v52|, s[36:37]
	s_and_b64 s[20:21], s[14:15], s[20:21]
	s_and_b64 s[18:19], s[14:15], s[18:19]
	v_pk_fma_f32 v[44:45], v[52:53], s[30:31], v[44:45] op_sel_hi:[1,0,1]
	v_pk_fma_f32 v[52:53], v[36:37], v[50:51], 1.0 op_sel_hi:[0,1,0] neg_lo:[1,0,0] neg_hi:[1,0,0]
	v_cndmask_b32_e64 v51, 0, 1.0, s[18:19]
	v_cndmask_b32_e64 v50, 0, 1.0, s[20:21]
	v_pk_mul_f32 v[50:51], v[0:1], v[50:51] op_sel_hi:[0,1]
	v_cndmask_b32_e64 v53, v53, 1.0, s[4:5]
	v_cndmask_b32_e64 v52, v52, 1.0, vcc
	v_pk_fma_f32 v[102:103], v[52:53], v[50:51], v[44:45]
	v_pk_add_f32 v[50:51], v[94:95], v[4:5] op_sel:[0,1] neg_lo:[0,1] neg_hi:[0,1]
	v_pk_add_f32 v[44:45], v[90:91], v[4:5] op_sel_hi:[1,0] neg_lo:[0,1] neg_hi:[0,1]
	v_pk_mul_f32 v[50:51], v[50:51], v[50:51]
	v_pk_add_f32 v[52:53], v[10:11], v[6:7] op_sel_hi:[1,0] neg_lo:[0,1] neg_hi:[0,1]
	v_pk_fma_f32 v[44:45], v[44:45], v[44:45], v[50:51]
	v_pk_fma_f32 v[44:45], v[52:53], v[52:53], v[44:45]
	v_cmp_gt_f32_e32 vcc, s43, v45
	v_mul_f32_e32 v7, 0x4f800000, v45
	v_cndmask_b32_e32 v7, v45, v7, vcc
	v_sqrt_f32_e32 v45, v7
	v_add_u32_e32 v47, -1, v45
	v_fma_f32 v50, -v47, v45, v7
	v_cmp_ge_f32_e64 s[4:5], 0, v50
	v_add_u32_e32 v50, 1, v45
	v_cndmask_b32_e64 v47, v45, v47, s[4:5]
	v_fma_f32 v45, -v50, v45, v7
	v_cmp_lt_f32_e64 s[4:5], 0, v45
	v_cndmask_b32_e64 v45, v47, v50, s[4:5]
	v_mul_f32_e32 v47, 0x37800000, v45
	v_cndmask_b32_e32 v45, v45, v47, vcc
	v_cmp_class_f32_e32 vcc, v7, v35
	v_cndmask_b32_e32 v45, v45, v7, vcc
	v_cmp_gt_f32_e32 vcc, s43, v44
	v_mul_f32_e32 v7, 0x4f800000, v44
	v_cndmask_b32_e32 v7, v44, v7, vcc
	v_sqrt_f32_e32 v44, v7
	v_add_u32_e32 v47, -1, v44
	v_fma_f32 v50, -v47, v44, v7
	v_cmp_ge_f32_e64 s[4:5], 0, v50
	v_add_u32_e32 v50, 1, v44
	v_cndmask_b32_e64 v47, v44, v47, s[4:5]
	v_fma_f32 v44, -v50, v44, v7
	v_cmp_lt_f32_e64 s[4:5], 0, v44
	v_cndmask_b32_e64 v44, v47, v50, s[4:5]
	v_mul_f32_e32 v47, 0x37800000, v44
	v_cndmask_b32_e32 v44, v44, v47, vcc
	v_cmp_class_f32_e32 vcc, v7, v35
	v_cndmask_b32_e32 v44, v44, v7, vcc
	v_pk_add_f32 v[50:51], v[44:45], v[40:41] op_sel_hi:[1,0] neg_lo:[0,1] neg_hi:[0,1]
	v_cmp_gt_f32_e32 vcc, 0, v50
	v_cmp_gt_f32_e64 s[4:5], 0, v51
	v_pk_fma_f32 v[44:45], v[42:43], v[44:45], 1.0 op_sel_hi:[0,1,0] neg_lo:[1,0,0] neg_hi:[1,0,0]
	v_cndmask_b32_e64 v53, 0, v39, s[4:5]
	v_cndmask_b32_e32 v52, 0, v39, vcc
	v_pk_fma_f32 v[44:45], v[44:45], v[52:53], v[92:93]
	v_pk_fma_f32 v[52:53], v[34:35], v[50:51], 1.0 op_sel_hi:[0,1,0] neg_lo:[1,0,0] neg_hi:[1,0,0]
	v_cmp_lt_f32_e64 s[18:19], v50, v46
	v_cmp_lt_f32_e64 s[20:21], v51, v46
	v_cndmask_b32_e64 v53, v53, 1.0, s[4:5]
	v_cndmask_b32_e64 v52, v52, 1.0, vcc
	v_cndmask_b32_e64 v93, 0, 1.0, s[20:21]
	v_cndmask_b32_e64 v92, 0, 1.0, s[18:19]
	v_pk_mul_f32 v[52:53], v[92:93], v[52:53]
	v_pk_mul_f32 v[52:53], v[38:39], v[52:53] op_sel_hi:[0,1]
	v_cmp_lt_f32_e64 s[18:19], v51, v43
	v_cmp_lt_f32_e64 s[20:21], v50, v43
	v_cndmask_b32_e64 v53, v53, -|v53|, s[36:37]
	v_cndmask_b32_e64 v52, v52, -|v52|, s[36:37]
	s_and_b64 s[20:21], s[14:15], s[20:21]
	s_and_b64 s[18:19], s[14:15], s[18:19]
	v_pk_fma_f32 v[44:45], v[52:53], s[30:31], v[44:45] op_sel_hi:[1,0,1]
	v_pk_fma_f32 v[52:53], v[36:37], v[50:51], 1.0 op_sel_hi:[0,1,0] neg_lo:[1,0,0] neg_hi:[1,0,0]
	v_cndmask_b32_e64 v51, 0, 1.0, s[18:19]
	v_cndmask_b32_e64 v50, 0, 1.0, s[20:21]
	v_pk_mul_f32 v[50:51], v[0:1], v[50:51] op_sel_hi:[0,1]
	v_cndmask_b32_e64 v53, v53, 1.0, s[4:5]
	v_cndmask_b32_e64 v52, v52, 1.0, vcc
	v_pk_fma_f32 v[92:93], v[52:53], v[50:51], v[44:45]
	v_pk_add_f32 v[50:51], v[98:99], v[4:5] op_sel:[0,1] neg_lo:[0,1] neg_hi:[0,1]
	v_pk_add_f32 v[44:45], v[96:97], v[4:5] op_sel_hi:[1,0] neg_lo:[0,1] neg_hi:[0,1]
	v_pk_mul_f32 v[50:51], v[50:51], v[50:51]
	v_pk_add_f32 v[52:53], v[14:15], v[6:7] op_sel_hi:[1,0] neg_lo:[0,1] neg_hi:[0,1]
	v_pk_fma_f32 v[44:45], v[44:45], v[44:45], v[50:51]
	v_pk_fma_f32 v[44:45], v[52:53], v[52:53], v[44:45]
	v_cmp_gt_f32_e32 vcc, s43, v45
	v_mul_f32_e32 v7, 0x4f800000, v45
	v_cndmask_b32_e32 v7, v45, v7, vcc
	v_sqrt_f32_e32 v45, v7
	v_add_u32_e32 v47, -1, v45
	v_fma_f32 v50, -v47, v45, v7
	v_cmp_ge_f32_e64 s[4:5], 0, v50
	v_add_u32_e32 v50, 1, v45
	v_cndmask_b32_e64 v47, v45, v47, s[4:5]
	v_fma_f32 v45, -v50, v45, v7
	v_cmp_lt_f32_e64 s[4:5], 0, v45
	v_cndmask_b32_e64 v45, v47, v50, s[4:5]
	v_mul_f32_e32 v47, 0x37800000, v45
	v_cndmask_b32_e32 v45, v45, v47, vcc
	v_cmp_class_f32_e32 vcc, v7, v35
	v_cndmask_b32_e32 v45, v45, v7, vcc
	v_cmp_gt_f32_e32 vcc, s43, v44
	v_mul_f32_e32 v7, 0x4f800000, v44
	v_cndmask_b32_e32 v7, v44, v7, vcc
	v_sqrt_f32_e32 v44, v7
	v_add_u32_e32 v47, -1, v44
	v_fma_f32 v50, -v47, v44, v7
	v_cmp_ge_f32_e64 s[4:5], 0, v50
	v_add_u32_e32 v50, 1, v44
	v_cndmask_b32_e64 v47, v44, v47, s[4:5]
	v_fma_f32 v44, -v50, v44, v7
	v_cmp_lt_f32_e64 s[4:5], 0, v44
	v_cndmask_b32_e64 v44, v47, v50, s[4:5]
	v_mul_f32_e32 v47, 0x37800000, v44
	v_cndmask_b32_e32 v44, v44, v47, vcc
	v_cmp_class_f32_e32 vcc, v7, v35
	v_cndmask_b32_e32 v44, v44, v7, vcc
	v_pk_add_f32 v[50:51], v[44:45], v[40:41] op_sel_hi:[1,0] neg_lo:[0,1] neg_hi:[0,1]
	v_cmp_gt_f32_e32 vcc, 0, v50
	v_cmp_gt_f32_e64 s[4:5], 0, v51
	v_pk_fma_f32 v[44:45], v[42:43], v[44:45], 1.0 op_sel_hi:[0,1,0] neg_lo:[1,0,0] neg_hi:[1,0,0]
	v_cndmask_b32_e64 v53, 0, v39, s[4:5]
	v_cndmask_b32_e32 v52, 0, v39, vcc
	v_pk_fma_f32 v[44:45], v[44:45], v[52:53], v[114:115]
	v_pk_fma_f32 v[52:53], v[34:35], v[50:51], 1.0 op_sel_hi:[0,1,0] neg_lo:[1,0,0] neg_hi:[1,0,0]
	v_cmp_lt_f32_e64 s[18:19], v50, v46
	v_cmp_lt_f32_e64 s[20:21], v51, v46
	v_cndmask_b32_e64 v53, v53, 1.0, s[4:5]
	v_cndmask_b32_e64 v52, v52, 1.0, vcc
	v_cndmask_b32_e64 v115, 0, 1.0, s[20:21]
	v_cndmask_b32_e64 v114, 0, 1.0, s[18:19]
	v_pk_mul_f32 v[52:53], v[114:115], v[52:53]
	v_pk_mul_f32 v[52:53], v[38:39], v[52:53] op_sel_hi:[0,1]
	v_cmp_lt_f32_e64 s[18:19], v51, v43
	v_cmp_lt_f32_e64 s[20:21], v50, v43
	v_cndmask_b32_e64 v53, v53, -|v53|, s[36:37]
	v_cndmask_b32_e64 v52, v52, -|v52|, s[36:37]
	s_and_b64 s[20:21], s[14:15], s[20:21]
	s_and_b64 s[18:19], s[14:15], s[18:19]
	v_pk_fma_f32 v[44:45], v[52:53], s[30:31], v[44:45] op_sel_hi:[1,0,1]
	v_pk_fma_f32 v[52:53], v[36:37], v[50:51], 1.0 op_sel_hi:[0,1,0] neg_lo:[1,0,0] neg_hi:[1,0,0]
	v_cndmask_b32_e64 v51, 0, 1.0, s[18:19]
	v_cndmask_b32_e64 v50, 0, 1.0, s[20:21]
	v_pk_mul_f32 v[50:51], v[0:1], v[50:51] op_sel_hi:[0,1]
	v_cndmask_b32_e64 v53, v53, 1.0, s[4:5]
	v_cndmask_b32_e64 v52, v52, 1.0, vcc
	v_pk_fma_f32 v[114:115], v[52:53], v[50:51], v[44:45]
	v_pk_add_f32 v[50:51], v[116:117], v[4:5] op_sel:[0,1] neg_lo:[0,1] neg_hi:[0,1]
	v_pk_add_f32 v[44:45], v[108:109], v[4:5] op_sel_hi:[1,0] neg_lo:[0,1] neg_hi:[0,1]
	v_pk_mul_f32 v[50:51], v[50:51], v[50:51]
	v_pk_add_f32 v[52:53], v[16:17], v[6:7] op_sel_hi:[1,0] neg_lo:[0,1] neg_hi:[0,1]
	v_pk_fma_f32 v[44:45], v[44:45], v[44:45], v[50:51]
	v_pk_fma_f32 v[44:45], v[52:53], v[52:53], v[44:45]
	v_cmp_gt_f32_e32 vcc, s43, v45
	v_mul_f32_e32 v7, 0x4f800000, v45
	v_cndmask_b32_e32 v7, v45, v7, vcc
	v_sqrt_f32_e32 v45, v7
	v_add_u32_e32 v47, -1, v45
	v_fma_f32 v50, -v47, v45, v7
	v_cmp_ge_f32_e64 s[4:5], 0, v50
	v_add_u32_e32 v50, 1, v45
	v_cndmask_b32_e64 v47, v45, v47, s[4:5]
	v_fma_f32 v45, -v50, v45, v7
	v_cmp_lt_f32_e64 s[4:5], 0, v45
	v_cndmask_b32_e64 v45, v47, v50, s[4:5]
	v_mul_f32_e32 v47, 0x37800000, v45
	v_cndmask_b32_e32 v45, v45, v47, vcc
	v_cmp_class_f32_e32 vcc, v7, v35
	v_cndmask_b32_e32 v45, v45, v7, vcc
	v_cmp_gt_f32_e32 vcc, s43, v44
	v_mul_f32_e32 v7, 0x4f800000, v44
	v_cndmask_b32_e32 v7, v44, v7, vcc
	v_sqrt_f32_e32 v44, v7
	v_add_u32_e32 v47, -1, v44
	v_fma_f32 v50, -v47, v44, v7
	v_cmp_ge_f32_e64 s[4:5], 0, v50
	v_add_u32_e32 v50, 1, v44
	v_cndmask_b32_e64 v47, v44, v47, s[4:5]
	v_fma_f32 v44, -v50, v44, v7
	v_cmp_lt_f32_e64 s[4:5], 0, v44
	v_cndmask_b32_e64 v44, v47, v50, s[4:5]
	v_mul_f32_e32 v47, 0x37800000, v44
	v_cndmask_b32_e32 v44, v44, v47, vcc
	v_cmp_class_f32_e32 vcc, v7, v35
	v_cndmask_b32_e32 v44, v44, v7, vcc
	v_pk_add_f32 v[50:51], v[44:45], v[40:41] op_sel_hi:[1,0] neg_lo:[0,1] neg_hi:[0,1]
	v_cmp_gt_f32_e32 vcc, 0, v50
	v_cmp_gt_f32_e64 s[4:5], 0, v51
	v_pk_fma_f32 v[44:45], v[42:43], v[44:45], 1.0 op_sel_hi:[0,1,0] neg_lo:[1,0,0] neg_hi:[1,0,0]
	v_cndmask_b32_e64 v53, 0, v39, s[4:5]
	v_cndmask_b32_e32 v52, 0, v39, vcc
	v_pk_fma_f32 v[44:45], v[44:45], v[52:53], v[112:113]
	v_pk_fma_f32 v[52:53], v[34:35], v[50:51], 1.0 op_sel_hi:[0,1,0] neg_lo:[1,0,0] neg_hi:[1,0,0]
	v_cmp_lt_f32_e64 s[18:19], v50, v46
	v_cmp_lt_f32_e64 s[20:21], v51, v46
	v_cndmask_b32_e64 v53, v53, 1.0, s[4:5]
	v_cndmask_b32_e64 v52, v52, 1.0, vcc
	v_cndmask_b32_e64 v113, 0, 1.0, s[20:21]
	v_cndmask_b32_e64 v112, 0, 1.0, s[18:19]
	v_pk_mul_f32 v[52:53], v[112:113], v[52:53]
	v_pk_mul_f32 v[52:53], v[38:39], v[52:53] op_sel_hi:[0,1]
	v_cmp_lt_f32_e64 s[18:19], v51, v43
	v_cmp_lt_f32_e64 s[20:21], v50, v43
	v_cndmask_b32_e64 v53, v53, -|v53|, s[36:37]
	v_cndmask_b32_e64 v52, v52, -|v52|, s[36:37]
	s_and_b64 s[20:21], s[14:15], s[20:21]
	s_and_b64 s[18:19], s[14:15], s[18:19]
	v_pk_fma_f32 v[44:45], v[52:53], s[30:31], v[44:45] op_sel_hi:[1,0,1]
	v_pk_fma_f32 v[52:53], v[36:37], v[50:51], 1.0 op_sel_hi:[0,1,0] neg_lo:[1,0,0] neg_hi:[1,0,0]
	v_cndmask_b32_e64 v51, 0, 1.0, s[18:19]
	v_cndmask_b32_e64 v50, 0, 1.0, s[20:21]
	v_pk_mul_f32 v[50:51], v[0:1], v[50:51] op_sel_hi:[0,1]
	v_cndmask_b32_e64 v53, v53, 1.0, s[4:5]
	v_cndmask_b32_e64 v52, v52, 1.0, vcc
	v_pk_fma_f32 v[112:113], v[52:53], v[50:51], v[44:45]
	v_pk_add_f32 v[50:51], v[120:121], v[4:5] op_sel:[0,1] neg_lo:[0,1] neg_hi:[0,1]
	v_pk_add_f32 v[44:45], v[118:119], v[4:5] op_sel_hi:[1,0] neg_lo:[0,1] neg_hi:[0,1]
	v_pk_mul_f32 v[50:51], v[50:51], v[50:51]
	v_pk_add_f32 v[52:53], v[18:19], v[6:7] op_sel_hi:[1,0] neg_lo:[0,1] neg_hi:[0,1]
	v_pk_fma_f32 v[44:45], v[44:45], v[44:45], v[50:51]
	v_pk_fma_f32 v[44:45], v[52:53], v[52:53], v[44:45]
	v_cmp_gt_f32_e32 vcc, s43, v45
	v_mul_f32_e32 v7, 0x4f800000, v45
	v_cndmask_b32_e32 v7, v45, v7, vcc
	v_sqrt_f32_e32 v45, v7
	v_add_u32_e32 v47, -1, v45
	v_fma_f32 v50, -v47, v45, v7
	v_cmp_ge_f32_e64 s[4:5], 0, v50
	v_add_u32_e32 v50, 1, v45
	v_cndmask_b32_e64 v47, v45, v47, s[4:5]
	v_fma_f32 v45, -v50, v45, v7
	v_cmp_lt_f32_e64 s[4:5], 0, v45
	v_cndmask_b32_e64 v45, v47, v50, s[4:5]
	v_mul_f32_e32 v47, 0x37800000, v45
	v_cndmask_b32_e32 v45, v45, v47, vcc
	v_cmp_class_f32_e32 vcc, v7, v35
	v_cndmask_b32_e32 v45, v45, v7, vcc
	v_cmp_gt_f32_e32 vcc, s43, v44
	v_mul_f32_e32 v7, 0x4f800000, v44
	v_cndmask_b32_e32 v7, v44, v7, vcc
	v_sqrt_f32_e32 v44, v7
	v_add_u32_e32 v47, -1, v44
	v_fma_f32 v50, -v47, v44, v7
	v_cmp_ge_f32_e64 s[4:5], 0, v50
	v_add_u32_e32 v50, 1, v44
	v_cndmask_b32_e64 v47, v44, v47, s[4:5]
	v_fma_f32 v44, -v50, v44, v7
	v_cmp_lt_f32_e64 s[4:5], 0, v44
	v_cndmask_b32_e64 v44, v47, v50, s[4:5]
	v_mul_f32_e32 v47, 0x37800000, v44
	v_cndmask_b32_e32 v44, v44, v47, vcc
	v_cmp_class_f32_e32 vcc, v7, v35
	v_cndmask_b32_e32 v44, v44, v7, vcc
	v_pk_add_f32 v[50:51], v[44:45], v[40:41] op_sel_hi:[1,0] neg_lo:[0,1] neg_hi:[0,1]
	v_cmp_gt_f32_e32 vcc, 0, v50
	v_cmp_gt_f32_e64 s[4:5], 0, v51
	v_pk_fma_f32 v[44:45], v[42:43], v[44:45], 1.0 op_sel_hi:[0,1,0] neg_lo:[1,0,0] neg_hi:[1,0,0]
	v_cndmask_b32_e64 v53, 0, v39, s[4:5]
	v_cndmask_b32_e32 v52, 0, v39, vcc
	v_pk_fma_f32 v[44:45], v[44:45], v[52:53], v[100:101]
	v_pk_fma_f32 v[52:53], v[34:35], v[50:51], 1.0 op_sel_hi:[0,1,0] neg_lo:[1,0,0] neg_hi:[1,0,0]
	v_cmp_lt_f32_e64 s[18:19], v50, v46
	v_cmp_lt_f32_e64 s[20:21], v51, v46
	v_cndmask_b32_e64 v53, v53, 1.0, s[4:5]
	v_cndmask_b32_e64 v52, v52, 1.0, vcc
	v_cndmask_b32_e64 v101, 0, 1.0, s[20:21]
	v_cndmask_b32_e64 v100, 0, 1.0, s[18:19]
	v_pk_mul_f32 v[52:53], v[100:101], v[52:53]
	v_pk_mul_f32 v[52:53], v[38:39], v[52:53] op_sel_hi:[0,1]
	v_cmp_lt_f32_e64 s[18:19], v51, v43
	v_cmp_lt_f32_e64 s[20:21], v50, v43
	v_cndmask_b32_e64 v53, v53, -|v53|, s[36:37]
	v_cndmask_b32_e64 v52, v52, -|v52|, s[36:37]
	s_and_b64 s[20:21], s[14:15], s[20:21]
	s_and_b64 s[18:19], s[14:15], s[18:19]
	v_pk_fma_f32 v[44:45], v[52:53], s[30:31], v[44:45] op_sel_hi:[1,0,1]
	v_pk_fma_f32 v[52:53], v[36:37], v[50:51], 1.0 op_sel_hi:[0,1,0] neg_lo:[1,0,0] neg_hi:[1,0,0]
	v_cndmask_b32_e64 v51, 0, 1.0, s[18:19]
	v_cndmask_b32_e64 v50, 0, 1.0, s[20:21]
	v_pk_mul_f32 v[50:51], v[0:1], v[50:51] op_sel_hi:[0,1]
	v_cndmask_b32_e64 v53, v53, 1.0, s[4:5]
	v_cndmask_b32_e64 v52, v52, 1.0, vcc
	v_pk_fma_f32 v[100:101], v[52:53], v[50:51], v[44:45]
	buffer_load_dword v44, off, s[0:3], 0 offset:1664 ; 4-byte Folded Reload
	buffer_load_dword v45, off, s[0:3], 0 offset:1668 ; 4-byte Folded Reload
	;; [unrolled: 1-line block ×4, first 2 shown]
	v_pk_add_f32 v[52:53], v[20:21], v[6:7] op_sel_hi:[1,0] neg_lo:[0,1] neg_hi:[0,1]
	s_waitcnt vmcnt(2)
	v_pk_add_f32 v[44:45], v[44:45], v[4:5] op_sel_hi:[1,0] neg_lo:[0,1] neg_hi:[0,1]
	s_waitcnt vmcnt(0)
	v_pk_add_f32 v[50:51], v[50:51], v[4:5] op_sel:[0,1] neg_lo:[0,1] neg_hi:[0,1]
	v_pk_mul_f32 v[50:51], v[50:51], v[50:51]
	v_pk_fma_f32 v[44:45], v[44:45], v[44:45], v[50:51]
	v_pk_fma_f32 v[44:45], v[52:53], v[52:53], v[44:45]
	v_cmp_gt_f32_e32 vcc, s43, v45
	v_mul_f32_e32 v7, 0x4f800000, v45
	v_cndmask_b32_e32 v7, v45, v7, vcc
	v_sqrt_f32_e32 v45, v7
	v_add_u32_e32 v47, -1, v45
	v_fma_f32 v50, -v47, v45, v7
	v_cmp_ge_f32_e64 s[4:5], 0, v50
	v_add_u32_e32 v50, 1, v45
	v_cndmask_b32_e64 v47, v45, v47, s[4:5]
	v_fma_f32 v45, -v50, v45, v7
	v_cmp_lt_f32_e64 s[4:5], 0, v45
	v_cndmask_b32_e64 v45, v47, v50, s[4:5]
	v_mul_f32_e32 v47, 0x37800000, v45
	v_cndmask_b32_e32 v45, v45, v47, vcc
	v_cmp_class_f32_e32 vcc, v7, v35
	v_cndmask_b32_e32 v45, v45, v7, vcc
	v_cmp_gt_f32_e32 vcc, s43, v44
	v_mul_f32_e32 v7, 0x4f800000, v44
	v_cndmask_b32_e32 v7, v44, v7, vcc
	v_sqrt_f32_e32 v44, v7
	v_add_u32_e32 v47, -1, v44
	v_fma_f32 v50, -v47, v44, v7
	v_cmp_ge_f32_e64 s[4:5], 0, v50
	v_add_u32_e32 v50, 1, v44
	v_cndmask_b32_e64 v47, v44, v47, s[4:5]
	v_fma_f32 v44, -v50, v44, v7
	v_cmp_lt_f32_e64 s[4:5], 0, v44
	v_cndmask_b32_e64 v44, v47, v50, s[4:5]
	v_mul_f32_e32 v47, 0x37800000, v44
	v_cndmask_b32_e32 v44, v44, v47, vcc
	v_cmp_class_f32_e32 vcc, v7, v35
	v_cndmask_b32_e32 v44, v44, v7, vcc
	v_pk_add_f32 v[50:51], v[44:45], v[40:41] op_sel_hi:[1,0] neg_lo:[0,1] neg_hi:[0,1]
	v_cmp_gt_f32_e32 vcc, 0, v50
	v_cmp_gt_f32_e64 s[4:5], 0, v51
	v_pk_fma_f32 v[44:45], v[42:43], v[44:45], 1.0 op_sel_hi:[0,1,0] neg_lo:[1,0,0] neg_hi:[1,0,0]
	v_cndmask_b32_e64 v53, 0, v39, s[4:5]
	v_cndmask_b32_e32 v52, 0, v39, vcc
	v_pk_fma_f32 v[44:45], v[44:45], v[52:53], v[48:49]
	v_pk_fma_f32 v[48:49], v[34:35], v[50:51], 1.0 op_sel_hi:[0,1,0] neg_lo:[1,0,0] neg_hi:[1,0,0]
	v_cmp_lt_f32_e64 s[18:19], v50, v46
	v_cmp_lt_f32_e64 s[20:21], v51, v46
	v_cndmask_b32_e64 v49, v49, 1.0, s[4:5]
	v_cndmask_b32_e64 v48, v48, 1.0, vcc
	v_cndmask_b32_e64 v53, 0, 1.0, s[20:21]
	v_cndmask_b32_e64 v52, 0, 1.0, s[18:19]
	v_pk_mul_f32 v[48:49], v[52:53], v[48:49]
	v_pk_mul_f32 v[48:49], v[38:39], v[48:49] op_sel_hi:[0,1]
	v_cmp_lt_f32_e64 s[18:19], v51, v43
	v_cmp_lt_f32_e64 s[20:21], v50, v43
	v_cndmask_b32_e64 v49, v49, -|v49|, s[36:37]
	v_cndmask_b32_e64 v48, v48, -|v48|, s[36:37]
	s_and_b64 s[20:21], s[14:15], s[20:21]
	s_and_b64 s[18:19], s[14:15], s[18:19]
	v_pk_fma_f32 v[44:45], v[48:49], s[30:31], v[44:45] op_sel_hi:[1,0,1]
	v_pk_fma_f32 v[48:49], v[36:37], v[50:51], 1.0 op_sel_hi:[0,1,0] neg_lo:[1,0,0] neg_hi:[1,0,0]
	v_cndmask_b32_e64 v51, 0, 1.0, s[18:19]
	v_cndmask_b32_e64 v50, 0, 1.0, s[20:21]
	v_pk_mul_f32 v[50:51], v[0:1], v[50:51] op_sel_hi:[0,1]
	v_cndmask_b32_e64 v49, v49, 1.0, s[4:5]
	v_cndmask_b32_e64 v48, v48, 1.0, vcc
	v_pk_fma_f32 v[48:49], v[48:49], v[50:51], v[44:45]
	buffer_load_dword v44, off, s[0:3], 0 offset:1680 ; 4-byte Folded Reload
	buffer_load_dword v45, off, s[0:3], 0 offset:1684 ; 4-byte Folded Reload
	;; [unrolled: 1-line block ×4, first 2 shown]
	v_pk_add_f32 v[52:53], v[22:23], v[6:7] op_sel_hi:[1,0] neg_lo:[0,1] neg_hi:[0,1]
	s_waitcnt vmcnt(2)
	v_pk_add_f32 v[44:45], v[44:45], v[4:5] op_sel_hi:[1,0] neg_lo:[0,1] neg_hi:[0,1]
	s_waitcnt vmcnt(0)
	v_pk_add_f32 v[50:51], v[50:51], v[4:5] op_sel:[0,1] neg_lo:[0,1] neg_hi:[0,1]
	v_pk_mul_f32 v[50:51], v[50:51], v[50:51]
	v_pk_fma_f32 v[44:45], v[44:45], v[44:45], v[50:51]
	v_pk_fma_f32 v[44:45], v[52:53], v[52:53], v[44:45]
	v_cmp_gt_f32_e32 vcc, s43, v45
	v_mul_f32_e32 v7, 0x4f800000, v45
	v_cndmask_b32_e32 v7, v45, v7, vcc
	v_sqrt_f32_e32 v45, v7
	v_add_u32_e32 v47, -1, v45
	v_fma_f32 v50, -v47, v45, v7
	v_cmp_ge_f32_e64 s[4:5], 0, v50
	v_add_u32_e32 v50, 1, v45
	v_cndmask_b32_e64 v47, v45, v47, s[4:5]
	v_fma_f32 v45, -v50, v45, v7
	v_cmp_lt_f32_e64 s[4:5], 0, v45
	v_cndmask_b32_e64 v45, v47, v50, s[4:5]
	v_mul_f32_e32 v47, 0x37800000, v45
	v_cndmask_b32_e32 v45, v45, v47, vcc
	v_cmp_class_f32_e32 vcc, v7, v35
	v_cndmask_b32_e32 v45, v45, v7, vcc
	v_cmp_gt_f32_e32 vcc, s43, v44
	v_mul_f32_e32 v7, 0x4f800000, v44
	v_cndmask_b32_e32 v7, v44, v7, vcc
	v_sqrt_f32_e32 v44, v7
	v_add_u32_e32 v47, -1, v44
	v_fma_f32 v50, -v47, v44, v7
	v_cmp_ge_f32_e64 s[4:5], 0, v50
	v_add_u32_e32 v50, 1, v44
	v_cndmask_b32_e64 v47, v44, v47, s[4:5]
	v_fma_f32 v44, -v50, v44, v7
	v_cmp_lt_f32_e64 s[4:5], 0, v44
	v_cndmask_b32_e64 v44, v47, v50, s[4:5]
	v_mul_f32_e32 v47, 0x37800000, v44
	v_cndmask_b32_e32 v44, v44, v47, vcc
	v_cmp_class_f32_e32 vcc, v7, v35
	v_cndmask_b32_e32 v44, v44, v7, vcc
	v_pk_add_f32 v[50:51], v[44:45], v[40:41] op_sel_hi:[1,0] neg_lo:[0,1] neg_hi:[0,1]
	v_cmp_gt_f32_e32 vcc, 0, v50
	v_cmp_gt_f32_e64 s[4:5], 0, v51
	v_pk_fma_f32 v[44:45], v[42:43], v[44:45], 1.0 op_sel_hi:[0,1,0] neg_lo:[1,0,0] neg_hi:[1,0,0]
	v_cndmask_b32_e64 v53, 0, v39, s[4:5]
	v_cndmask_b32_e32 v52, 0, v39, vcc
	v_pk_fma_f32 v[44:45], v[44:45], v[52:53], v[82:83]
	v_pk_fma_f32 v[52:53], v[34:35], v[50:51], 1.0 op_sel_hi:[0,1,0] neg_lo:[1,0,0] neg_hi:[1,0,0]
	v_cmp_lt_f32_e64 s[18:19], v50, v46
	v_cmp_lt_f32_e64 s[20:21], v51, v46
	v_cndmask_b32_e64 v53, v53, 1.0, s[4:5]
	v_cndmask_b32_e64 v52, v52, 1.0, vcc
	v_cndmask_b32_e64 v83, 0, 1.0, s[20:21]
	v_cndmask_b32_e64 v82, 0, 1.0, s[18:19]
	v_pk_mul_f32 v[52:53], v[82:83], v[52:53]
	v_pk_mul_f32 v[52:53], v[38:39], v[52:53] op_sel_hi:[0,1]
	v_cmp_lt_f32_e64 s[18:19], v51, v43
	v_cmp_lt_f32_e64 s[20:21], v50, v43
	v_cndmask_b32_e64 v53, v53, -|v53|, s[36:37]
	v_cndmask_b32_e64 v52, v52, -|v52|, s[36:37]
	s_and_b64 s[20:21], s[14:15], s[20:21]
	s_and_b64 s[18:19], s[14:15], s[18:19]
	v_pk_fma_f32 v[44:45], v[52:53], s[30:31], v[44:45] op_sel_hi:[1,0,1]
	v_pk_fma_f32 v[52:53], v[36:37], v[50:51], 1.0 op_sel_hi:[0,1,0] neg_lo:[1,0,0] neg_hi:[1,0,0]
	v_cndmask_b32_e64 v51, 0, 1.0, s[18:19]
	v_cndmask_b32_e64 v50, 0, 1.0, s[20:21]
	v_pk_mul_f32 v[50:51], v[0:1], v[50:51] op_sel_hi:[0,1]
	v_cndmask_b32_e64 v53, v53, 1.0, s[4:5]
	v_cndmask_b32_e64 v52, v52, 1.0, vcc
	v_pk_fma_f32 v[82:83], v[52:53], v[50:51], v[44:45]
	buffer_load_dword v44, off, s[0:3], 0 offset:1696 ; 4-byte Folded Reload
	buffer_load_dword v45, off, s[0:3], 0 offset:1700 ; 4-byte Folded Reload
	buffer_load_dword v50, off, s[0:3], 0 offset:1704 ; 4-byte Folded Reload
	buffer_load_dword v51, off, s[0:3], 0 offset:1708 ; 4-byte Folded Reload
	v_pk_add_f32 v[52:53], v[24:25], v[6:7] op_sel_hi:[1,0] neg_lo:[0,1] neg_hi:[0,1]
	s_waitcnt vmcnt(2)
	v_pk_add_f32 v[44:45], v[44:45], v[4:5] op_sel_hi:[1,0] neg_lo:[0,1] neg_hi:[0,1]
	s_waitcnt vmcnt(0)
	v_pk_add_f32 v[50:51], v[50:51], v[4:5] op_sel:[0,1] neg_lo:[0,1] neg_hi:[0,1]
	v_pk_mul_f32 v[50:51], v[50:51], v[50:51]
	v_pk_fma_f32 v[44:45], v[44:45], v[44:45], v[50:51]
	v_pk_fma_f32 v[44:45], v[52:53], v[52:53], v[44:45]
	v_cmp_gt_f32_e32 vcc, s43, v45
	v_mul_f32_e32 v7, 0x4f800000, v45
	v_cndmask_b32_e32 v7, v45, v7, vcc
	v_sqrt_f32_e32 v45, v7
	v_add_u32_e32 v47, -1, v45
	v_fma_f32 v50, -v47, v45, v7
	v_cmp_ge_f32_e64 s[4:5], 0, v50
	v_add_u32_e32 v50, 1, v45
	v_cndmask_b32_e64 v47, v45, v47, s[4:5]
	v_fma_f32 v45, -v50, v45, v7
	v_cmp_lt_f32_e64 s[4:5], 0, v45
	v_cndmask_b32_e64 v45, v47, v50, s[4:5]
	v_mul_f32_e32 v47, 0x37800000, v45
	v_cndmask_b32_e32 v45, v45, v47, vcc
	v_cmp_class_f32_e32 vcc, v7, v35
	v_cndmask_b32_e32 v45, v45, v7, vcc
	v_cmp_gt_f32_e32 vcc, s43, v44
	v_mul_f32_e32 v7, 0x4f800000, v44
	v_cndmask_b32_e32 v7, v44, v7, vcc
	v_sqrt_f32_e32 v44, v7
	v_add_u32_e32 v47, -1, v44
	v_fma_f32 v50, -v47, v44, v7
	v_cmp_ge_f32_e64 s[4:5], 0, v50
	v_add_u32_e32 v50, 1, v44
	v_cndmask_b32_e64 v47, v44, v47, s[4:5]
	v_fma_f32 v44, -v50, v44, v7
	v_cmp_lt_f32_e64 s[4:5], 0, v44
	v_cndmask_b32_e64 v44, v47, v50, s[4:5]
	v_mul_f32_e32 v47, 0x37800000, v44
	v_cndmask_b32_e32 v44, v44, v47, vcc
	v_cmp_class_f32_e32 vcc, v7, v35
	v_cndmask_b32_e32 v44, v44, v7, vcc
	v_pk_add_f32 v[50:51], v[44:45], v[40:41] op_sel_hi:[1,0] neg_lo:[0,1] neg_hi:[0,1]
	v_cmp_gt_f32_e32 vcc, 0, v50
	v_cmp_gt_f32_e64 s[4:5], 0, v51
	v_pk_fma_f32 v[44:45], v[42:43], v[44:45], 1.0 op_sel_hi:[0,1,0] neg_lo:[1,0,0] neg_hi:[1,0,0]
	v_cndmask_b32_e64 v53, 0, v39, s[4:5]
	v_cndmask_b32_e32 v52, 0, v39, vcc
	v_pk_fma_f32 v[44:45], v[44:45], v[52:53], v[74:75]
	v_pk_fma_f32 v[52:53], v[34:35], v[50:51], 1.0 op_sel_hi:[0,1,0] neg_lo:[1,0,0] neg_hi:[1,0,0]
	v_cmp_lt_f32_e64 s[18:19], v50, v46
	v_cmp_lt_f32_e64 s[20:21], v51, v46
	v_cndmask_b32_e64 v53, v53, 1.0, s[4:5]
	v_cndmask_b32_e64 v52, v52, 1.0, vcc
	v_cndmask_b32_e64 v75, 0, 1.0, s[20:21]
	v_cndmask_b32_e64 v74, 0, 1.0, s[18:19]
	v_pk_mul_f32 v[52:53], v[74:75], v[52:53]
	v_pk_mul_f32 v[52:53], v[38:39], v[52:53] op_sel_hi:[0,1]
	v_cmp_lt_f32_e64 s[18:19], v51, v43
	v_cmp_lt_f32_e64 s[20:21], v50, v43
	v_cndmask_b32_e64 v53, v53, -|v53|, s[36:37]
	v_cndmask_b32_e64 v52, v52, -|v52|, s[36:37]
	s_and_b64 s[20:21], s[14:15], s[20:21]
	s_and_b64 s[18:19], s[14:15], s[18:19]
	v_pk_fma_f32 v[44:45], v[52:53], s[30:31], v[44:45] op_sel_hi:[1,0,1]
	v_pk_fma_f32 v[52:53], v[36:37], v[50:51], 1.0 op_sel_hi:[0,1,0] neg_lo:[1,0,0] neg_hi:[1,0,0]
	v_cndmask_b32_e64 v51, 0, 1.0, s[18:19]
	v_cndmask_b32_e64 v50, 0, 1.0, s[20:21]
	v_pk_mul_f32 v[50:51], v[0:1], v[50:51] op_sel_hi:[0,1]
	v_cndmask_b32_e64 v53, v53, 1.0, s[4:5]
	v_cndmask_b32_e64 v52, v52, 1.0, vcc
	v_pk_fma_f32 v[74:75], v[52:53], v[50:51], v[44:45]
	buffer_load_dword v44, off, s[0:3], 0 offset:1712 ; 4-byte Folded Reload
	buffer_load_dword v45, off, s[0:3], 0 offset:1716 ; 4-byte Folded Reload
	;; [unrolled: 1-line block ×4, first 2 shown]
	v_pk_add_f32 v[52:53], v[26:27], v[6:7] op_sel_hi:[1,0] neg_lo:[0,1] neg_hi:[0,1]
	s_waitcnt vmcnt(2)
	v_pk_add_f32 v[44:45], v[44:45], v[4:5] op_sel_hi:[1,0] neg_lo:[0,1] neg_hi:[0,1]
	s_waitcnt vmcnt(0)
	v_pk_add_f32 v[50:51], v[50:51], v[4:5] op_sel:[0,1] neg_lo:[0,1] neg_hi:[0,1]
	v_pk_mul_f32 v[50:51], v[50:51], v[50:51]
	v_pk_fma_f32 v[44:45], v[44:45], v[44:45], v[50:51]
	v_pk_fma_f32 v[44:45], v[52:53], v[52:53], v[44:45]
	v_cmp_gt_f32_e32 vcc, s43, v45
	v_mul_f32_e32 v7, 0x4f800000, v45
	v_cndmask_b32_e32 v7, v45, v7, vcc
	v_sqrt_f32_e32 v45, v7
	v_add_u32_e32 v47, -1, v45
	v_fma_f32 v50, -v47, v45, v7
	v_cmp_ge_f32_e64 s[4:5], 0, v50
	v_add_u32_e32 v50, 1, v45
	v_cndmask_b32_e64 v47, v45, v47, s[4:5]
	v_fma_f32 v45, -v50, v45, v7
	v_cmp_lt_f32_e64 s[4:5], 0, v45
	v_cndmask_b32_e64 v45, v47, v50, s[4:5]
	v_mul_f32_e32 v47, 0x37800000, v45
	v_cndmask_b32_e32 v45, v45, v47, vcc
	v_cmp_class_f32_e32 vcc, v7, v35
	v_cndmask_b32_e32 v45, v45, v7, vcc
	v_cmp_gt_f32_e32 vcc, s43, v44
	v_mul_f32_e32 v7, 0x4f800000, v44
	v_cndmask_b32_e32 v7, v44, v7, vcc
	v_sqrt_f32_e32 v44, v7
	v_add_u32_e32 v47, -1, v44
	v_fma_f32 v50, -v47, v44, v7
	v_cmp_ge_f32_e64 s[4:5], 0, v50
	v_add_u32_e32 v50, 1, v44
	v_cndmask_b32_e64 v47, v44, v47, s[4:5]
	v_fma_f32 v44, -v50, v44, v7
	v_cmp_lt_f32_e64 s[4:5], 0, v44
	v_cndmask_b32_e64 v44, v47, v50, s[4:5]
	v_mul_f32_e32 v47, 0x37800000, v44
	v_cndmask_b32_e32 v44, v44, v47, vcc
	v_cmp_class_f32_e32 vcc, v7, v35
	v_cndmask_b32_e32 v44, v44, v7, vcc
	v_pk_add_f32 v[50:51], v[44:45], v[40:41] op_sel_hi:[1,0] neg_lo:[0,1] neg_hi:[0,1]
	v_cmp_gt_f32_e32 vcc, 0, v50
	v_cmp_gt_f32_e64 s[4:5], 0, v51
	v_pk_fma_f32 v[44:45], v[42:43], v[44:45], 1.0 op_sel_hi:[0,1,0] neg_lo:[1,0,0] neg_hi:[1,0,0]
	v_cndmask_b32_e64 v53, 0, v39, s[4:5]
	v_cndmask_b32_e32 v52, 0, v39, vcc
	v_pk_fma_f32 v[44:45], v[44:45], v[52:53], v[126:127]
	v_pk_fma_f32 v[52:53], v[34:35], v[50:51], 1.0 op_sel_hi:[0,1,0] neg_lo:[1,0,0] neg_hi:[1,0,0]
	v_cmp_lt_f32_e64 s[18:19], v50, v46
	v_cmp_lt_f32_e64 s[20:21], v51, v46
	v_cndmask_b32_e64 v53, v53, 1.0, s[4:5]
	v_cndmask_b32_e64 v52, v52, 1.0, vcc
	v_cndmask_b32_e64 v127, 0, 1.0, s[20:21]
	v_cndmask_b32_e64 v126, 0, 1.0, s[18:19]
	v_pk_mul_f32 v[52:53], v[126:127], v[52:53]
	v_pk_mul_f32 v[52:53], v[38:39], v[52:53] op_sel_hi:[0,1]
	v_cmp_lt_f32_e64 s[18:19], v51, v43
	v_cmp_lt_f32_e64 s[20:21], v50, v43
	v_cndmask_b32_e64 v53, v53, -|v53|, s[36:37]
	v_cndmask_b32_e64 v52, v52, -|v52|, s[36:37]
	s_and_b64 s[20:21], s[14:15], s[20:21]
	s_and_b64 s[18:19], s[14:15], s[18:19]
	v_pk_fma_f32 v[44:45], v[52:53], s[30:31], v[44:45] op_sel_hi:[1,0,1]
	v_pk_fma_f32 v[52:53], v[36:37], v[50:51], 1.0 op_sel_hi:[0,1,0] neg_lo:[1,0,0] neg_hi:[1,0,0]
	v_cndmask_b32_e64 v51, 0, 1.0, s[18:19]
	v_cndmask_b32_e64 v50, 0, 1.0, s[20:21]
	v_pk_mul_f32 v[50:51], v[0:1], v[50:51] op_sel_hi:[0,1]
	v_cndmask_b32_e64 v53, v53, 1.0, s[4:5]
	v_cndmask_b32_e64 v52, v52, 1.0, vcc
	v_pk_fma_f32 v[126:127], v[52:53], v[50:51], v[44:45]
	buffer_load_dword v44, off, s[0:3], 0 offset:1728 ; 4-byte Folded Reload
	buffer_load_dword v45, off, s[0:3], 0 offset:1732 ; 4-byte Folded Reload
	;; [unrolled: 1-line block ×4, first 2 shown]
	v_pk_add_f32 v[52:53], v[28:29], v[6:7] op_sel_hi:[1,0] neg_lo:[0,1] neg_hi:[0,1]
	s_waitcnt vmcnt(2)
	v_pk_add_f32 v[44:45], v[44:45], v[4:5] op_sel_hi:[1,0] neg_lo:[0,1] neg_hi:[0,1]
	s_waitcnt vmcnt(0)
	v_pk_add_f32 v[50:51], v[50:51], v[4:5] op_sel:[0,1] neg_lo:[0,1] neg_hi:[0,1]
	v_pk_mul_f32 v[50:51], v[50:51], v[50:51]
	v_pk_fma_f32 v[44:45], v[44:45], v[44:45], v[50:51]
	v_pk_fma_f32 v[44:45], v[52:53], v[52:53], v[44:45]
	v_cmp_gt_f32_e32 vcc, s43, v45
	v_mul_f32_e32 v7, 0x4f800000, v45
	v_cndmask_b32_e32 v7, v45, v7, vcc
	v_sqrt_f32_e32 v45, v7
	v_add_u32_e32 v47, -1, v45
	v_fma_f32 v50, -v47, v45, v7
	v_cmp_ge_f32_e64 s[4:5], 0, v50
	v_add_u32_e32 v50, 1, v45
	v_cndmask_b32_e64 v47, v45, v47, s[4:5]
	v_fma_f32 v45, -v50, v45, v7
	v_cmp_lt_f32_e64 s[4:5], 0, v45
	v_cndmask_b32_e64 v45, v47, v50, s[4:5]
	v_mul_f32_e32 v47, 0x37800000, v45
	v_cndmask_b32_e32 v45, v45, v47, vcc
	v_cmp_class_f32_e32 vcc, v7, v35
	v_cndmask_b32_e32 v45, v45, v7, vcc
	v_cmp_gt_f32_e32 vcc, s43, v44
	v_mul_f32_e32 v7, 0x4f800000, v44
	v_cndmask_b32_e32 v7, v44, v7, vcc
	v_sqrt_f32_e32 v44, v7
	v_add_u32_e32 v47, -1, v44
	v_fma_f32 v50, -v47, v44, v7
	v_cmp_ge_f32_e64 s[4:5], 0, v50
	v_add_u32_e32 v50, 1, v44
	v_cndmask_b32_e64 v47, v44, v47, s[4:5]
	v_fma_f32 v44, -v50, v44, v7
	v_cmp_lt_f32_e64 s[4:5], 0, v44
	v_cndmask_b32_e64 v44, v47, v50, s[4:5]
	v_mul_f32_e32 v47, 0x37800000, v44
	v_cndmask_b32_e32 v44, v44, v47, vcc
	v_cmp_class_f32_e32 vcc, v7, v35
	v_cndmask_b32_e32 v44, v44, v7, vcc
	v_pk_add_f32 v[50:51], v[44:45], v[40:41] op_sel_hi:[1,0] neg_lo:[0,1] neg_hi:[0,1]
	v_cmp_gt_f32_e32 vcc, 0, v50
	v_cmp_gt_f32_e64 s[4:5], 0, v51
	v_pk_fma_f32 v[44:45], v[42:43], v[44:45], 1.0 op_sel_hi:[0,1,0] neg_lo:[1,0,0] neg_hi:[1,0,0]
	v_cndmask_b32_e64 v53, 0, v39, s[4:5]
	v_cndmask_b32_e32 v52, 0, v39, vcc
	v_pk_fma_f32 v[44:45], v[44:45], v[52:53], v[122:123]
	v_pk_fma_f32 v[52:53], v[34:35], v[50:51], 1.0 op_sel_hi:[0,1,0] neg_lo:[1,0,0] neg_hi:[1,0,0]
	v_cmp_lt_f32_e64 s[18:19], v50, v46
	v_cmp_lt_f32_e64 s[20:21], v51, v46
	v_cndmask_b32_e64 v53, v53, 1.0, s[4:5]
	v_cndmask_b32_e64 v52, v52, 1.0, vcc
	v_cndmask_b32_e64 v123, 0, 1.0, s[20:21]
	v_cndmask_b32_e64 v122, 0, 1.0, s[18:19]
	v_pk_mul_f32 v[52:53], v[122:123], v[52:53]
	v_pk_mul_f32 v[52:53], v[38:39], v[52:53] op_sel_hi:[0,1]
	v_cmp_lt_f32_e64 s[18:19], v51, v43
	v_cmp_lt_f32_e64 s[20:21], v50, v43
	v_cndmask_b32_e64 v53, v53, -|v53|, s[36:37]
	v_cndmask_b32_e64 v52, v52, -|v52|, s[36:37]
	s_and_b64 s[20:21], s[14:15], s[20:21]
	s_and_b64 s[18:19], s[14:15], s[18:19]
	v_pk_fma_f32 v[44:45], v[52:53], s[30:31], v[44:45] op_sel_hi:[1,0,1]
	v_pk_fma_f32 v[52:53], v[36:37], v[50:51], 1.0 op_sel_hi:[0,1,0] neg_lo:[1,0,0] neg_hi:[1,0,0]
	v_cndmask_b32_e64 v51, 0, 1.0, s[18:19]
	v_cndmask_b32_e64 v50, 0, 1.0, s[20:21]
	v_pk_mul_f32 v[50:51], v[0:1], v[50:51] op_sel_hi:[0,1]
	v_cndmask_b32_e64 v53, v53, 1.0, s[4:5]
	v_cndmask_b32_e64 v52, v52, 1.0, vcc
	v_pk_fma_f32 v[122:123], v[52:53], v[50:51], v[44:45]
	buffer_load_dword v44, off, s[0:3], 0 offset:1744 ; 4-byte Folded Reload
	buffer_load_dword v45, off, s[0:3], 0 offset:1748 ; 4-byte Folded Reload
	;; [unrolled: 1-line block ×4, first 2 shown]
	v_pk_add_f32 v[52:53], v[32:33], v[6:7] op_sel_hi:[1,0] neg_lo:[0,1] neg_hi:[0,1]
	s_waitcnt vmcnt(2)
	v_pk_add_f32 v[44:45], v[44:45], v[4:5] op_sel_hi:[1,0] neg_lo:[0,1] neg_hi:[0,1]
	s_waitcnt vmcnt(0)
	v_pk_add_f32 v[50:51], v[50:51], v[4:5] op_sel:[0,1] neg_lo:[0,1] neg_hi:[0,1]
	v_pk_mul_f32 v[50:51], v[50:51], v[50:51]
	v_pk_fma_f32 v[44:45], v[44:45], v[44:45], v[50:51]
	v_pk_fma_f32 v[44:45], v[52:53], v[52:53], v[44:45]
	v_cmp_gt_f32_e32 vcc, s43, v45
	v_mul_f32_e32 v7, 0x4f800000, v45
	v_cndmask_b32_e32 v7, v45, v7, vcc
	v_sqrt_f32_e32 v45, v7
	v_add_u32_e32 v47, -1, v45
	v_fma_f32 v50, -v47, v45, v7
	v_cmp_ge_f32_e64 s[4:5], 0, v50
	v_add_u32_e32 v50, 1, v45
	v_cndmask_b32_e64 v47, v45, v47, s[4:5]
	v_fma_f32 v45, -v50, v45, v7
	v_cmp_lt_f32_e64 s[4:5], 0, v45
	v_cndmask_b32_e64 v45, v47, v50, s[4:5]
	v_mul_f32_e32 v47, 0x37800000, v45
	v_cndmask_b32_e32 v45, v45, v47, vcc
	v_cmp_class_f32_e32 vcc, v7, v35
	v_cndmask_b32_e32 v45, v45, v7, vcc
	v_cmp_gt_f32_e32 vcc, s43, v44
	v_mul_f32_e32 v7, 0x4f800000, v44
	v_cndmask_b32_e32 v7, v44, v7, vcc
	v_sqrt_f32_e32 v44, v7
	v_add_u32_e32 v47, -1, v44
	v_fma_f32 v50, -v47, v44, v7
	v_cmp_ge_f32_e64 s[4:5], 0, v50
	v_add_u32_e32 v50, 1, v44
	v_cndmask_b32_e64 v47, v44, v47, s[4:5]
	v_fma_f32 v44, -v50, v44, v7
	v_cmp_lt_f32_e64 s[4:5], 0, v44
	v_cndmask_b32_e64 v44, v47, v50, s[4:5]
	v_mul_f32_e32 v47, 0x37800000, v44
	v_cndmask_b32_e32 v44, v44, v47, vcc
	v_cmp_class_f32_e32 vcc, v7, v35
	v_cndmask_b32_e32 v44, v44, v7, vcc
	v_pk_add_f32 v[50:51], v[44:45], v[40:41] op_sel_hi:[1,0] neg_lo:[0,1] neg_hi:[0,1]
	v_cmp_gt_f32_e32 vcc, 0, v50
	v_cmp_gt_f32_e64 s[4:5], 0, v51
	v_pk_fma_f32 v[44:45], v[42:43], v[44:45], 1.0 op_sel_hi:[0,1,0] neg_lo:[1,0,0] neg_hi:[1,0,0]
	v_cndmask_b32_e64 v53, 0, v39, s[4:5]
	v_cndmask_b32_e32 v52, 0, v39, vcc
	v_pk_fma_f32 v[8:9], v[44:45], v[52:53], v[8:9]
	v_pk_fma_f32 v[44:45], v[34:35], v[50:51], 1.0 op_sel_hi:[0,1,0] neg_lo:[1,0,0] neg_hi:[1,0,0]
	v_cmp_lt_f32_e64 s[18:19], v50, v46
	v_cmp_lt_f32_e64 s[20:21], v51, v46
	v_cndmask_b32_e64 v45, v45, 1.0, s[4:5]
	v_cndmask_b32_e64 v44, v44, 1.0, vcc
	v_cndmask_b32_e64 v53, 0, 1.0, s[20:21]
	v_cndmask_b32_e64 v52, 0, 1.0, s[18:19]
	v_pk_mul_f32 v[44:45], v[52:53], v[44:45]
	v_pk_mul_f32 v[44:45], v[38:39], v[44:45] op_sel_hi:[0,1]
	v_cmp_lt_f32_e64 s[18:19], v51, v43
	v_cmp_lt_f32_e64 s[20:21], v50, v43
	v_cndmask_b32_e64 v45, v45, -|v45|, s[36:37]
	v_cndmask_b32_e64 v44, v44, -|v44|, s[36:37]
	s_and_b64 s[20:21], s[14:15], s[20:21]
	s_and_b64 s[18:19], s[14:15], s[18:19]
	v_pk_fma_f32 v[8:9], v[44:45], s[30:31], v[8:9] op_sel_hi:[1,0,1]
	v_pk_fma_f32 v[44:45], v[36:37], v[50:51], 1.0 op_sel_hi:[0,1,0] neg_lo:[1,0,0] neg_hi:[1,0,0]
	v_cndmask_b32_e64 v51, 0, 1.0, s[18:19]
	v_cndmask_b32_e64 v50, 0, 1.0, s[20:21]
	v_pk_mul_f32 v[50:51], v[0:1], v[50:51] op_sel_hi:[0,1]
	v_cndmask_b32_e64 v45, v45, 1.0, s[4:5]
	v_cndmask_b32_e64 v44, v44, 1.0, vcc
	v_pk_fma_f32 v[8:9], v[44:45], v[50:51], v[8:9]
	v_pk_add_f32 v[50:51], v[58:59], v[4:5] op_sel:[0,1] neg_lo:[0,1] neg_hi:[0,1]
	v_pk_add_f32 v[44:45], v[56:57], v[4:5] op_sel_hi:[1,0] neg_lo:[0,1] neg_hi:[0,1]
	v_pk_mul_f32 v[50:51], v[50:51], v[50:51]
	v_pk_add_f32 v[52:53], v[68:69], v[6:7] op_sel_hi:[1,0] neg_lo:[0,1] neg_hi:[0,1]
	v_pk_fma_f32 v[44:45], v[44:45], v[44:45], v[50:51]
	v_pk_fma_f32 v[44:45], v[52:53], v[52:53], v[44:45]
	v_cmp_gt_f32_e32 vcc, s43, v45
	v_mul_f32_e32 v7, 0x4f800000, v45
	v_cndmask_b32_e32 v7, v45, v7, vcc
	v_sqrt_f32_e32 v45, v7
	v_add_u32_e32 v47, -1, v45
	v_fma_f32 v50, -v47, v45, v7
	v_cmp_ge_f32_e64 s[4:5], 0, v50
	v_add_u32_e32 v50, 1, v45
	v_cndmask_b32_e64 v47, v45, v47, s[4:5]
	v_fma_f32 v45, -v50, v45, v7
	v_cmp_lt_f32_e64 s[4:5], 0, v45
	v_cndmask_b32_e64 v45, v47, v50, s[4:5]
	v_mul_f32_e32 v47, 0x37800000, v45
	v_cndmask_b32_e32 v45, v45, v47, vcc
	v_cmp_class_f32_e32 vcc, v7, v35
	v_cndmask_b32_e32 v45, v45, v7, vcc
	v_cmp_gt_f32_e32 vcc, s43, v44
	v_mul_f32_e32 v7, 0x4f800000, v44
	v_cndmask_b32_e32 v7, v44, v7, vcc
	v_sqrt_f32_e32 v44, v7
	v_add_u32_e32 v47, -1, v44
	v_fma_f32 v50, -v47, v44, v7
	v_cmp_ge_f32_e64 s[4:5], 0, v50
	v_add_u32_e32 v50, 1, v44
	v_cndmask_b32_e64 v47, v44, v47, s[4:5]
	v_fma_f32 v44, -v50, v44, v7
	v_cmp_lt_f32_e64 s[4:5], 0, v44
	v_cndmask_b32_e64 v44, v47, v50, s[4:5]
	v_mul_f32_e32 v47, 0x37800000, v44
	v_cndmask_b32_e32 v44, v44, v47, vcc
	v_cmp_class_f32_e32 vcc, v7, v35
	v_cndmask_b32_e32 v44, v44, v7, vcc
	v_pk_add_f32 v[50:51], v[44:45], v[40:41] op_sel_hi:[1,0] neg_lo:[0,1] neg_hi:[0,1]
	v_cmp_gt_f32_e32 vcc, 0, v50
	v_cmp_gt_f32_e64 s[4:5], 0, v51
	v_pk_fma_f32 v[44:45], v[42:43], v[44:45], 1.0 op_sel_hi:[0,1,0] neg_lo:[1,0,0] neg_hi:[1,0,0]
	v_cndmask_b32_e64 v53, 0, v39, s[4:5]
	v_cndmask_b32_e32 v52, 0, v39, vcc
	v_pk_fma_f32 v[44:45], v[44:45], v[52:53], v[124:125]
	v_pk_fma_f32 v[52:53], v[34:35], v[50:51], 1.0 op_sel_hi:[0,1,0] neg_lo:[1,0,0] neg_hi:[1,0,0]
	v_cmp_lt_f32_e64 s[18:19], v50, v46
	v_cmp_lt_f32_e64 s[20:21], v51, v46
	v_cndmask_b32_e64 v53, v53, 1.0, s[4:5]
	v_cndmask_b32_e64 v52, v52, 1.0, vcc
	v_cndmask_b32_e64 v125, 0, 1.0, s[20:21]
	v_cndmask_b32_e64 v124, 0, 1.0, s[18:19]
	v_pk_mul_f32 v[52:53], v[124:125], v[52:53]
	v_pk_mul_f32 v[52:53], v[38:39], v[52:53] op_sel_hi:[0,1]
	v_cmp_lt_f32_e64 s[18:19], v51, v43
	v_cmp_lt_f32_e64 s[20:21], v50, v43
	v_cndmask_b32_e64 v53, v53, -|v53|, s[36:37]
	v_cndmask_b32_e64 v52, v52, -|v52|, s[36:37]
	s_and_b64 s[20:21], s[14:15], s[20:21]
	s_and_b64 s[18:19], s[14:15], s[18:19]
	v_pk_fma_f32 v[44:45], v[52:53], s[30:31], v[44:45] op_sel_hi:[1,0,1]
	v_pk_fma_f32 v[52:53], v[36:37], v[50:51], 1.0 op_sel_hi:[0,1,0] neg_lo:[1,0,0] neg_hi:[1,0,0]
	v_cndmask_b32_e64 v51, 0, 1.0, s[18:19]
	v_cndmask_b32_e64 v50, 0, 1.0, s[20:21]
	v_pk_mul_f32 v[50:51], v[0:1], v[50:51] op_sel_hi:[0,1]
	v_cndmask_b32_e64 v53, v53, 1.0, s[4:5]
	v_cndmask_b32_e64 v52, v52, 1.0, vcc
	v_pk_fma_f32 v[124:125], v[52:53], v[50:51], v[44:45]
	v_pk_add_f32 v[50:51], v[62:63], v[4:5] op_sel:[0,1] neg_lo:[0,1] neg_hi:[0,1]
	v_pk_add_f32 v[44:45], v[60:61], v[4:5] op_sel_hi:[1,0] neg_lo:[0,1] neg_hi:[0,1]
	v_pk_mul_f32 v[50:51], v[50:51], v[50:51]
	v_pk_add_f32 v[52:53], v[70:71], v[6:7] op_sel_hi:[1,0] neg_lo:[0,1] neg_hi:[0,1]
	v_pk_fma_f32 v[44:45], v[44:45], v[44:45], v[50:51]
	v_pk_fma_f32 v[44:45], v[52:53], v[52:53], v[44:45]
	v_cmp_gt_f32_e32 vcc, s43, v45
	v_mul_f32_e32 v7, 0x4f800000, v45
	v_cndmask_b32_e32 v7, v45, v7, vcc
	v_sqrt_f32_e32 v45, v7
	v_add_u32_e32 v47, -1, v45
	v_fma_f32 v50, -v47, v45, v7
	v_cmp_ge_f32_e64 s[4:5], 0, v50
	v_add_u32_e32 v50, 1, v45
	v_cndmask_b32_e64 v47, v45, v47, s[4:5]
	v_fma_f32 v45, -v50, v45, v7
	v_cmp_lt_f32_e64 s[4:5], 0, v45
	v_cndmask_b32_e64 v45, v47, v50, s[4:5]
	v_mul_f32_e32 v47, 0x37800000, v45
	v_cndmask_b32_e32 v45, v45, v47, vcc
	v_cmp_class_f32_e32 vcc, v7, v35
	v_cndmask_b32_e32 v45, v45, v7, vcc
	v_cmp_gt_f32_e32 vcc, s43, v44
	v_mul_f32_e32 v7, 0x4f800000, v44
	v_cndmask_b32_e32 v7, v44, v7, vcc
	v_sqrt_f32_e32 v44, v7
	v_add_u32_e32 v47, -1, v44
	v_fma_f32 v50, -v47, v44, v7
	v_cmp_ge_f32_e64 s[4:5], 0, v50
	v_add_u32_e32 v50, 1, v44
	v_cndmask_b32_e64 v47, v44, v47, s[4:5]
	v_fma_f32 v44, -v50, v44, v7
	v_cmp_lt_f32_e64 s[4:5], 0, v44
	v_cndmask_b32_e64 v44, v47, v50, s[4:5]
	v_mul_f32_e32 v47, 0x37800000, v44
	v_cndmask_b32_e32 v44, v44, v47, vcc
	v_cmp_class_f32_e32 vcc, v7, v35
	v_cndmask_b32_e32 v44, v44, v7, vcc
	v_pk_add_f32 v[50:51], v[44:45], v[40:41] op_sel_hi:[1,0] neg_lo:[0,1] neg_hi:[0,1]
	v_cmp_gt_f32_e32 vcc, 0, v50
	v_cmp_gt_f32_e64 s[4:5], 0, v51
	v_pk_fma_f32 v[44:45], v[42:43], v[44:45], 1.0 op_sel_hi:[0,1,0] neg_lo:[1,0,0] neg_hi:[1,0,0]
	v_cndmask_b32_e64 v53, 0, v39, s[4:5]
	v_cndmask_b32_e32 v52, 0, v39, vcc
	v_pk_fma_f32 v[12:13], v[44:45], v[52:53], v[12:13]
	v_pk_fma_f32 v[44:45], v[34:35], v[50:51], 1.0 op_sel_hi:[0,1,0] neg_lo:[1,0,0] neg_hi:[1,0,0]
	v_cmp_lt_f32_e64 s[18:19], v50, v46
	v_cmp_lt_f32_e64 s[20:21], v51, v46
	v_cndmask_b32_e64 v45, v45, 1.0, s[4:5]
	v_cndmask_b32_e64 v44, v44, 1.0, vcc
	v_cndmask_b32_e64 v53, 0, 1.0, s[20:21]
	v_cndmask_b32_e64 v52, 0, 1.0, s[18:19]
	v_pk_mul_f32 v[44:45], v[52:53], v[44:45]
	v_pk_mul_f32 v[44:45], v[38:39], v[44:45] op_sel_hi:[0,1]
	v_cmp_lt_f32_e64 s[18:19], v51, v43
	v_cmp_lt_f32_e64 s[20:21], v50, v43
	v_cndmask_b32_e64 v45, v45, -|v45|, s[36:37]
	v_cndmask_b32_e64 v44, v44, -|v44|, s[36:37]
	s_and_b64 s[20:21], s[14:15], s[20:21]
	s_and_b64 s[18:19], s[14:15], s[18:19]
	v_pk_fma_f32 v[12:13], v[44:45], s[30:31], v[12:13] op_sel_hi:[1,0,1]
	v_pk_fma_f32 v[44:45], v[36:37], v[50:51], 1.0 op_sel_hi:[0,1,0] neg_lo:[1,0,0] neg_hi:[1,0,0]
	v_cndmask_b32_e64 v51, 0, 1.0, s[18:19]
	v_cndmask_b32_e64 v50, 0, 1.0, s[20:21]
	v_pk_mul_f32 v[50:51], v[0:1], v[50:51] op_sel_hi:[0,1]
	v_cndmask_b32_e64 v45, v45, 1.0, s[4:5]
	v_cndmask_b32_e64 v44, v44, 1.0, vcc
	v_pk_fma_f32 v[12:13], v[44:45], v[50:51], v[12:13]
	v_pk_add_f32 v[44:45], v[64:65], v[4:5] op_sel_hi:[1,0] neg_lo:[0,1] neg_hi:[0,1]
	v_pk_add_f32 v[4:5], v[66:67], v[4:5] op_sel:[0,1] neg_lo:[0,1] neg_hi:[0,1]
	v_pk_mul_f32 v[4:5], v[4:5], v[4:5]
	v_pk_add_f32 v[6:7], v[72:73], v[6:7] op_sel_hi:[1,0] neg_lo:[0,1] neg_hi:[0,1]
	v_pk_fma_f32 v[4:5], v[44:45], v[44:45], v[4:5]
	v_pk_fma_f32 v[4:5], v[6:7], v[6:7], v[4:5]
	v_cmp_gt_f32_e32 vcc, s43, v5
	v_mul_f32_e32 v6, 0x4f800000, v5
	v_cndmask_b32_e32 v5, v5, v6, vcc
	v_sqrt_f32_e32 v6, v5
	v_add_u32_e32 v7, -1, v6
	v_fma_f32 v44, -v7, v6, v5
	v_cmp_ge_f32_e64 s[4:5], 0, v44
	v_add_u32_e32 v44, 1, v6
	v_cndmask_b32_e64 v7, v6, v7, s[4:5]
	v_fma_f32 v6, -v44, v6, v5
	v_cmp_lt_f32_e64 s[4:5], 0, v6
	v_cndmask_b32_e64 v6, v7, v44, s[4:5]
	v_mul_f32_e32 v7, 0x37800000, v6
	v_cndmask_b32_e32 v6, v6, v7, vcc
	v_cmp_class_f32_e32 vcc, v5, v35
	v_cndmask_b32_e32 v7, v6, v5, vcc
	v_cmp_gt_f32_e32 vcc, s43, v4
	v_mul_f32_e32 v5, 0x4f800000, v4
	v_cndmask_b32_e32 v4, v4, v5, vcc
	v_sqrt_f32_e32 v5, v4
	v_add_u32_e32 v6, -1, v5
	v_fma_f32 v44, -v6, v5, v4
	v_cmp_ge_f32_e64 s[4:5], 0, v44
	v_add_u32_e32 v44, 1, v5
	v_cndmask_b32_e64 v6, v5, v6, s[4:5]
	v_fma_f32 v5, -v44, v5, v4
	v_cmp_lt_f32_e64 s[4:5], 0, v5
	v_cndmask_b32_e64 v5, v6, v44, s[4:5]
	v_mul_f32_e32 v6, 0x37800000, v5
	v_cndmask_b32_e32 v5, v5, v6, vcc
	v_cmp_class_f32_e32 vcc, v4, v35
	v_cndmask_b32_e32 v6, v5, v4, vcc
	v_pk_add_f32 v[4:5], v[6:7], v[40:41] op_sel_hi:[1,0] neg_lo:[0,1] neg_hi:[0,1]
	v_cmp_gt_f32_e32 vcc, 0, v4
	v_cmp_gt_f32_e64 s[4:5], 0, v5
	v_pk_fma_f32 v[6:7], v[42:43], v[6:7], 1.0 op_sel_hi:[0,1,0] neg_lo:[1,0,0] neg_hi:[1,0,0]
	v_cndmask_b32_e64 v45, 0, v39, s[4:5]
	v_cndmask_b32_e32 v44, 0, v39, vcc
	v_pk_fma_f32 v[6:7], v[6:7], v[44:45], v[30:31]
	v_pk_fma_f32 v[30:31], v[34:35], v[4:5], 1.0 op_sel_hi:[0,1,0] neg_lo:[1,0,0] neg_hi:[1,0,0]
	v_cmp_lt_f32_e64 s[18:19], v4, v46
	v_cmp_lt_f32_e64 s[20:21], v5, v46
	v_cndmask_b32_e64 v31, v31, 1.0, s[4:5]
	v_cndmask_b32_e64 v30, v30, 1.0, vcc
	v_cndmask_b32_e64 v45, 0, 1.0, s[20:21]
	v_cndmask_b32_e64 v44, 0, 1.0, s[18:19]
	v_pk_mul_f32 v[30:31], v[44:45], v[30:31]
	v_pk_mul_f32 v[30:31], v[38:39], v[30:31] op_sel_hi:[0,1]
	v_cmp_lt_f32_e64 s[18:19], v5, v43
	v_cmp_lt_f32_e64 s[20:21], v4, v43
	v_cndmask_b32_e64 v31, v31, -|v31|, s[36:37]
	v_cndmask_b32_e64 v30, v30, -|v30|, s[36:37]
	s_and_b64 s[20:21], s[14:15], s[20:21]
	s_and_b64 s[14:15], s[14:15], s[18:19]
	v_pk_fma_f32 v[6:7], v[30:31], s[30:31], v[6:7] op_sel_hi:[1,0,1]
	v_pk_fma_f32 v[30:31], v[36:37], v[4:5], 1.0 op_sel_hi:[0,1,0] neg_lo:[1,0,0] neg_hi:[1,0,0]
	v_cndmask_b32_e64 v5, 0, 1.0, s[14:15]
	v_cndmask_b32_e64 v4, 0, 1.0, s[20:21]
	s_add_u32 s34, s34, 16
	v_pk_mul_f32 v[4:5], v[0:1], v[4:5] op_sel_hi:[0,1]
	v_cndmask_b32_e64 v31, v31, 1.0, s[4:5]
	v_cndmask_b32_e64 v30, v30, 1.0, vcc
	s_addc_u32 s35, s35, 0
	s_add_i32 s44, s44, -1
	v_mov_b32_e32 v34, 0
	v_pk_fma_f32 v[30:31], v[30:31], v[4:5], v[6:7]
	s_cmp_lg_u32 s44, 0
	s_cbranch_scc1 .LBB5_28
; %bb.29:                               ;   in Loop: Header=BB5_27 Depth=1
	s_add_i32 s28, s28, 1
	s_cmp_lg_u32 s28, s40
	s_cbranch_scc0 .LBB5_31
; %bb.30:                               ;   in Loop: Header=BB5_27 Depth=1
	buffer_load_dword v52, off, s[0:3], 0 offset:1800 ; 4-byte Folded Reload
	buffer_load_dword v53, off, s[0:3], 0 offset:1804 ; 4-byte Folded Reload
	;; [unrolled: 1-line block ×4, first 2 shown]
	s_branch .LBB5_27
.LBB5_31:
	buffer_store_dword v111, off, s[0:3], 0 offset:4
	buffer_store_dword v110, off, s[0:3], 0
	buffer_store_dword v107, off, s[0:3], 0 offset:12
	buffer_store_dword v106, off, s[0:3], 0 offset:8
	;; [unrolled: 1-line block ×30, first 2 shown]
	s_and_saveexec_b64 s[4:5], s[16:17]
	s_cbranch_execz .LBB5_33
; %bb.32:
	buffer_load_dword v14, off, s[0:3], 0 offset:3000 ; 4-byte Folded Reload
	buffer_load_dword v15, off, s[0:3], 0 offset:3004 ; 4-byte Folded Reload
	s_waitcnt vmcnt(0)
	v_mov_b32_e32 v15, 0
	v_mov_b32_e32 v3, s25
	v_mul_f32_e32 v2, 0.5, v110
	v_mov_b32_e32 v4, s25
	v_mov_b32_e32 v5, s25
	;; [unrolled: 1-line block ×7, first 2 shown]
	buffer_load_dword v12, off, s[0:3], 0 offset:108
	buffer_load_dword v11, off, s[0:3], 0 offset:104
	v_lshlrev_b64 v[0:1], 2, v[14:15]
	v_add_co_u32_e32 v0, vcc, s24, v0
	v_addc_co_u32_e32 v1, vcc, v3, v1, vcc
	v_add_u32_e32 v14, s31, v14
	global_store_dword v[0:1], v2, off
	v_lshlrev_b64 v[0:1], 2, v[14:15]
	v_add_co_u32_e32 v0, vcc, s24, v0
	v_mul_f32_e32 v2, 0.5, v111
	v_addc_co_u32_e32 v1, vcc, v3, v1, vcc
	v_add_u32_e32 v14, s31, v14
	global_store_dword v[0:1], v2, off
	v_lshlrev_b64 v[0:1], 2, v[14:15]
	v_add_co_u32_e32 v0, vcc, s24, v0
	v_mul_f32_e32 v2, 0.5, v106
	v_addc_co_u32_e32 v1, vcc, v3, v1, vcc
	v_add_u32_e32 v14, s31, v14
	global_store_dword v[0:1], v2, off
	v_lshlrev_b64 v[0:1], 2, v[14:15]
	v_add_co_u32_e32 v0, vcc, s24, v0
	v_mul_f32_e32 v2, 0.5, v107
	v_addc_co_u32_e32 v1, vcc, v3, v1, vcc
	v_add_u32_e32 v14, s31, v14
	global_store_dword v[0:1], v2, off
	v_lshlrev_b64 v[0:1], 2, v[14:15]
	v_add_co_u32_e32 v0, vcc, s24, v0
	v_mul_f32_e32 v2, 0.5, v102
	v_addc_co_u32_e32 v1, vcc, v3, v1, vcc
	v_add_u32_e32 v14, s31, v14
	global_store_dword v[0:1], v2, off
	v_lshlrev_b64 v[0:1], 2, v[14:15]
	v_add_co_u32_e32 v0, vcc, s24, v0
	v_mul_f32_e32 v2, 0.5, v103
	v_addc_co_u32_e32 v1, vcc, v3, v1, vcc
	v_add_u32_e32 v14, s31, v14
	global_store_dword v[0:1], v2, off
	v_lshlrev_b64 v[0:1], 2, v[14:15]
	v_add_co_u32_e32 v0, vcc, s24, v0
	v_mul_f32_e32 v2, 0.5, v92
	v_addc_co_u32_e32 v1, vcc, v3, v1, vcc
	v_add_u32_e32 v14, s31, v14
	global_store_dword v[0:1], v2, off
	v_lshlrev_b64 v[0:1], 2, v[14:15]
	v_add_co_u32_e32 v0, vcc, s24, v0
	v_mul_f32_e32 v2, 0.5, v93
	v_addc_co_u32_e32 v1, vcc, v3, v1, vcc
	v_add_u32_e32 v14, s31, v14
	global_store_dword v[0:1], v2, off
	v_lshlrev_b64 v[0:1], 2, v[14:15]
	v_add_co_u32_e32 v0, vcc, s24, v0
	v_mul_f32_e32 v2, 0.5, v114
	v_addc_co_u32_e32 v1, vcc, v3, v1, vcc
	v_add_u32_e32 v14, s31, v14
	global_store_dword v[0:1], v2, off
	v_lshlrev_b64 v[0:1], 2, v[14:15]
	v_add_co_u32_e32 v0, vcc, s24, v0
	v_mul_f32_e32 v2, 0.5, v115
	v_addc_co_u32_e32 v1, vcc, v3, v1, vcc
	v_add_u32_e32 v14, s31, v14
	global_store_dword v[0:1], v2, off
	v_lshlrev_b64 v[0:1], 2, v[14:15]
	v_add_co_u32_e32 v0, vcc, s24, v0
	v_mul_f32_e32 v2, 0.5, v112
	v_addc_co_u32_e32 v1, vcc, v3, v1, vcc
	v_add_u32_e32 v14, s31, v14
	global_store_dword v[0:1], v2, off
	buffer_load_dword v3, off, s[0:3], 0 offset:76
	v_lshlrev_b64 v[0:1], 2, v[14:15]
	v_add_co_u32_e32 v0, vcc, s24, v0
	v_mul_f32_e32 v2, 0.5, v113
	v_addc_co_u32_e32 v1, vcc, v4, v1, vcc
	buffer_load_dword v4, off, s[0:3], 0 offset:80
	v_add_u32_e32 v14, s31, v14
	global_store_dword v[0:1], v2, off
	v_lshlrev_b64 v[0:1], 2, v[14:15]
	v_add_co_u32_e32 v0, vcc, s24, v0
	v_addc_co_u32_e32 v1, vcc, v5, v1, vcc
	buffer_load_dword v5, off, s[0:3], 0 offset:84
	v_mul_f32_e32 v2, 0.5, v100
	v_add_u32_e32 v14, s31, v14
	global_store_dword v[0:1], v2, off
	v_lshlrev_b64 v[0:1], 2, v[14:15]
	v_add_co_u32_e32 v0, vcc, s24, v0
	v_mul_f32_e32 v2, 0.5, v101
	v_addc_co_u32_e32 v1, vcc, v6, v1, vcc
	buffer_load_dword v6, off, s[0:3], 0 offset:88
	v_add_u32_e32 v14, s31, v14
	global_store_dword v[0:1], v2, off
	v_lshlrev_b64 v[0:1], 2, v[14:15]
	v_add_co_u32_e32 v0, vcc, s24, v0
	v_mul_f32_e32 v2, 0.5, v48
	v_addc_co_u32_e32 v1, vcc, v7, v1, vcc
	buffer_load_dword v7, off, s[0:3], 0 offset:92
	v_add_u32_e32 v14, s31, v14
	global_store_dword v[0:1], v2, off
	v_lshlrev_b64 v[0:1], 2, v[14:15]
	v_add_co_u32_e32 v0, vcc, s24, v0
	v_mul_f32_e32 v2, 0.5, v49
	v_addc_co_u32_e32 v1, vcc, v8, v1, vcc
	global_store_dword v[0:1], v2, off
	buffer_load_dword v2, off, s[0:3], 0 offset:96
	v_add_u32_e32 v14, s31, v14
	v_lshlrev_b64 v[0:1], 2, v[14:15]
	v_add_co_u32_e32 v0, vcc, s24, v0
	v_addc_co_u32_e32 v1, vcc, v9, v1, vcc
	buffer_load_dword v9, off, s[0:3], 0 offset:100
	v_mul_f32_e32 v8, 0.5, v82
	v_add_u32_e32 v14, s31, v14
	global_store_dword v[0:1], v8, off
	v_lshlrev_b64 v[0:1], 2, v[14:15]
	v_add_co_u32_e32 v0, vcc, s24, v0
	v_mul_f32_e32 v8, 0.5, v83
	v_addc_co_u32_e32 v1, vcc, v10, v1, vcc
	v_add_u32_e32 v14, s31, v14
	global_store_dword v[0:1], v8, off
	v_lshlrev_b64 v[0:1], 2, v[14:15]
	v_add_co_u32_e32 v0, vcc, s24, v0
	v_mul_f32_e32 v8, 0.5, v74
	v_addc_co_u32_e32 v1, vcc, v10, v1, vcc
	v_add_u32_e32 v14, s31, v14
	buffer_load_dword v10, off, s[0:3], 0 offset:112
	s_waitcnt vmcnt(14)
	v_mul_f32_e32 v3, 0.5, v3
	global_store_dword v[0:1], v8, off
	v_lshlrev_b64 v[0:1], 2, v[14:15]
	v_mov_b32_e32 v8, s25
	v_add_co_u32_e32 v0, vcc, s24, v0
	v_addc_co_u32_e32 v1, vcc, v8, v1, vcc
	buffer_load_dword v8, off, s[0:3], 0 offset:116
	v_add_u32_e32 v14, s31, v14
	global_store_dword v[0:1], v3, off
	v_lshlrev_b64 v[0:1], 2, v[14:15]
	s_waitcnt vmcnt(16)
	v_mul_f32_e32 v3, 0.5, v4
	v_mov_b32_e32 v4, s25
	v_add_co_u32_e32 v0, vcc, s24, v0
	v_addc_co_u32_e32 v1, vcc, v4, v1, vcc
	buffer_load_dword v4, off, s[0:3], 0 offset:120
	v_add_u32_e32 v14, s31, v14
	global_store_dword v[0:1], v3, off
	v_lshlrev_b64 v[0:1], 2, v[14:15]
	s_waitcnt vmcnt(16)
	v_mul_f32_e32 v3, 0.5, v5
	;; [unrolled: 9-line block ×3, first 2 shown]
	v_mov_b32_e32 v6, s25
	v_add_co_u32_e32 v0, vcc, s24, v0
	v_addc_co_u32_e32 v1, vcc, v6, v1, vcc
	v_add_u32_e32 v14, s31, v14
	global_store_dword v[0:1], v3, off
	v_lshlrev_b64 v[0:1], 2, v[14:15]
	v_add_co_u32_e32 v0, vcc, s24, v0
	s_waitcnt vmcnt(15)
	v_mul_f32_e32 v3, 0.5, v7
	v_addc_co_u32_e32 v1, vcc, v6, v1, vcc
	v_add_u32_e32 v14, s31, v14
	global_store_dword v[0:1], v3, off
	v_lshlrev_b64 v[0:1], 2, v[14:15]
	v_mov_b32_e32 v3, s25
	v_add_co_u32_e32 v0, vcc, s24, v0
	s_waitcnt vmcnt(13)
	v_mul_f32_e32 v2, 0.5, v2
	v_addc_co_u32_e32 v1, vcc, v3, v1, vcc
	v_add_u32_e32 v14, s31, v14
	global_store_dword v[0:1], v2, off
	v_lshlrev_b64 v[0:1], 2, v[14:15]
	v_add_co_u32_e32 v0, vcc, s24, v0
	s_waitcnt vmcnt(13)
	v_mul_f32_e32 v2, 0.5, v9
	v_addc_co_u32_e32 v1, vcc, v3, v1, vcc
	v_add_u32_e32 v14, s31, v14
	global_store_dword v[0:1], v2, off
	v_lshlrev_b64 v[0:1], 2, v[14:15]
	v_add_co_u32_e32 v0, vcc, s24, v0
	v_mul_f32_e32 v2, 0.5, v11
	v_addc_co_u32_e32 v1, vcc, v3, v1, vcc
	v_add_u32_e32 v14, s31, v14
	global_store_dword v[0:1], v2, off
	v_lshlrev_b64 v[0:1], 2, v[14:15]
	v_add_co_u32_e32 v0, vcc, s24, v0
	;; [unrolled: 6-line block ×3, first 2 shown]
	s_waitcnt vmcnt(13)
	v_mul_f32_e32 v2, 0.5, v10
	v_addc_co_u32_e32 v1, vcc, v3, v1, vcc
	v_add_u32_e32 v14, s31, v14
	global_store_dword v[0:1], v2, off
	v_lshlrev_b64 v[0:1], 2, v[14:15]
	v_add_co_u32_e32 v0, vcc, s24, v0
	s_waitcnt vmcnt(12)
	v_mul_f32_e32 v2, 0.5, v8
	v_addc_co_u32_e32 v1, vcc, v3, v1, vcc
	v_add_u32_e32 v14, s31, v14
	global_store_dword v[0:1], v2, off
	v_lshlrev_b64 v[0:1], 2, v[14:15]
	v_add_co_u32_e32 v0, vcc, s24, v0
	;; [unrolled: 7-line block ×3, first 2 shown]
	s_waitcnt vmcnt(10)
	v_mul_f32_e32 v2, 0.5, v5
	v_addc_co_u32_e32 v1, vcc, v3, v1, vcc
	global_store_dword v[0:1], v2, off
.LBB5_33:
	s_endpgm
	.section	.rodata,"a",@progbits
	.p2align	6, 0x0
	.amdhsa_kernel _ZL11fasten_mainILm32EEviiPK4AtomS2_PKfS4_S4_S4_S4_S4_PfPK8FFParamsi
		.amdhsa_group_segment_fixed_size 0
		.amdhsa_private_segment_fixed_size 3024
		.amdhsa_kernarg_size 352
		.amdhsa_user_sgpr_count 8
		.amdhsa_user_sgpr_private_segment_buffer 1
		.amdhsa_user_sgpr_dispatch_ptr 0
		.amdhsa_user_sgpr_queue_ptr 0
		.amdhsa_user_sgpr_kernarg_segment_ptr 1
		.amdhsa_user_sgpr_dispatch_id 0
		.amdhsa_user_sgpr_flat_scratch_init 1
		.amdhsa_user_sgpr_kernarg_preload_length 0
		.amdhsa_user_sgpr_kernarg_preload_offset 0
		.amdhsa_user_sgpr_private_segment_size 0
		.amdhsa_uses_dynamic_stack 0
		.amdhsa_system_sgpr_private_segment_wavefront_offset 1
		.amdhsa_system_sgpr_workgroup_id_x 1
		.amdhsa_system_sgpr_workgroup_id_y 0
		.amdhsa_system_sgpr_workgroup_id_z 0
		.amdhsa_system_sgpr_workgroup_info 0
		.amdhsa_system_vgpr_workitem_id 0
		.amdhsa_next_free_vgpr 128
		.amdhsa_next_free_sgpr 52
		.amdhsa_accum_offset 128
		.amdhsa_reserve_vcc 1
		.amdhsa_reserve_flat_scratch 0
		.amdhsa_float_round_mode_32 0
		.amdhsa_float_round_mode_16_64 0
		.amdhsa_float_denorm_mode_32 3
		.amdhsa_float_denorm_mode_16_64 3
		.amdhsa_dx10_clamp 1
		.amdhsa_ieee_mode 1
		.amdhsa_fp16_overflow 0
		.amdhsa_tg_split 0
		.amdhsa_exception_fp_ieee_invalid_op 0
		.amdhsa_exception_fp_denorm_src 0
		.amdhsa_exception_fp_ieee_div_zero 0
		.amdhsa_exception_fp_ieee_overflow 0
		.amdhsa_exception_fp_ieee_underflow 0
		.amdhsa_exception_fp_ieee_inexact 0
		.amdhsa_exception_int_div_zero 0
	.end_amdhsa_kernel
	.section	.text._ZL11fasten_mainILm32EEviiPK4AtomS2_PKfS4_S4_S4_S4_S4_PfPK8FFParamsi,"axG",@progbits,_ZL11fasten_mainILm32EEviiPK4AtomS2_PKfS4_S4_S4_S4_S4_PfPK8FFParamsi,comdat
.Lfunc_end5:
	.size	_ZL11fasten_mainILm32EEviiPK4AtomS2_PKfS4_S4_S4_S4_S4_PfPK8FFParamsi, .Lfunc_end5-_ZL11fasten_mainILm32EEviiPK4AtomS2_PKfS4_S4_S4_S4_S4_PfPK8FFParamsi
                                        ; -- End function
	.section	.AMDGPU.csdata,"",@progbits
; Kernel info:
; codeLenInByte = 26924
; NumSgprs: 56
; NumVgprs: 128
; NumAgprs: 0
; TotalNumVgprs: 128
; ScratchSize: 3024
; MemoryBound: 0
; FloatMode: 240
; IeeeMode: 1
; LDSByteSize: 0 bytes/workgroup (compile time only)
; SGPRBlocks: 6
; VGPRBlocks: 15
; NumSGPRsForWavesPerEU: 56
; NumVGPRsForWavesPerEU: 128
; AccumOffset: 128
; Occupancy: 4
; WaveLimiterHint : 1
; COMPUTE_PGM_RSRC2:SCRATCH_EN: 1
; COMPUTE_PGM_RSRC2:USER_SGPR: 8
; COMPUTE_PGM_RSRC2:TRAP_HANDLER: 0
; COMPUTE_PGM_RSRC2:TGID_X_EN: 1
; COMPUTE_PGM_RSRC2:TGID_Y_EN: 0
; COMPUTE_PGM_RSRC2:TGID_Z_EN: 0
; COMPUTE_PGM_RSRC2:TIDIG_COMP_CNT: 0
; COMPUTE_PGM_RSRC3_GFX90A:ACCUM_OFFSET: 31
; COMPUTE_PGM_RSRC3_GFX90A:TG_SPLIT: 0
	.section	.text._ZL11fasten_mainILm64EEviiPK4AtomS2_PKfS4_S4_S4_S4_S4_PfPK8FFParamsi,"axG",@progbits,_ZL11fasten_mainILm64EEviiPK4AtomS2_PKfS4_S4_S4_S4_S4_PfPK8FFParamsi,comdat
	.globl	_ZL11fasten_mainILm64EEviiPK4AtomS2_PKfS4_S4_S4_S4_S4_PfPK8FFParamsi ; -- Begin function _ZL11fasten_mainILm64EEviiPK4AtomS2_PKfS4_S4_S4_S4_S4_PfPK8FFParamsi
	.p2align	8
	.type	_ZL11fasten_mainILm64EEviiPK4AtomS2_PKfS4_S4_S4_S4_S4_PfPK8FFParamsi,@function
_ZL11fasten_mainILm64EEviiPK4AtomS2_PKfS4_S4_S4_S4_S4_PfPK8FFParamsi: ; @_ZL11fasten_mainILm64EEviiPK4AtomS2_PKfS4_S4_S4_S4_S4_PfPK8FFParamsi
; %bb.0:
	s_load_dword s6, s[4:5], 0x6c
	s_load_dword s7, s[4:5], 0x58
	s_load_dwordx16 s[36:51], s[4:5], 0x8
	s_add_u32 s0, s0, s9
	s_addc_u32 s1, s1, 0
	s_waitcnt lgkmcnt(0)
	s_and_b32 s31, s6, 0xffff
	s_mul_i32 s8, s8, s31
	v_lshl_add_u32 v4, s8, 6, v0
	s_sub_i32 s6, s7, 64
	v_mov_b32_e32 v0, s6
	v_cmp_gt_i32_e64 s[18:19], s7, v4
	v_mov_b32_e32 v2, v4
	s_mov_b32 s6, 0x51000
	v_cndmask_b32_e64 v0, v0, v4, s[18:19]
	buffer_store_dword v2, off, s[0:3], s6  ; 4-byte Folded Spill
	s_nop 0
	buffer_store_dword v3, off, s[0:3], s6 offset:4 ; 4-byte Folded Spill
	v_ashrrev_i32_e32 v1, 31, v0
	v_lshlrev_b64 v[0:1], 2, v[0:1]
	s_lshl_b32 s16, s31, 2
	s_mov_b32 s17, 0
	v_mov_b32_e32 v8, 0x110
	s_brev_b32 s20, 18
	s_mov_b32 s21, 0xfe5163ab
	s_mov_b32 s22, 0x3c439041
	s_mov_b32 s23, 0xdb629599
	s_mov_b32 s24, 0xf534ddc0
	s_mov_b32 s25, 0xfc2757d1
	s_mov_b32 s26, 0x4e441529
	s_mov_b32 s27, 0xa2f9836e
	s_mov_b32 s28, 0x3fc90fda
	s_mov_b32 s29, 0x3f22f983
	s_mov_b32 s30, 0xbfc90fda
	v_mov_b32_e32 v9, 0xbe2aaa9d
	v_mov_b32_e32 v10, 0x3d2aabf7
	;; [unrolled: 1-line block ×4, first 2 shown]
	s_movk_i32 s33, 0x1f8
	v_mov_b32_e32 v12, 16
	v_not_b32_e32 v13, 63
	v_not_b32_e32 v14, 31
	v_mov_b32_e32 v15, 0x7fc00000
	s_branch .LBB6_2
.LBB6_1:                                ;   in Loop: Header=BB6_2 Depth=1
	s_or_b64 exec, exec, s[6:7]
	v_mul_f32_e32 v29, v28, v28
	v_mov_b32_e32 v30, 0x3c0881c4
	v_fmac_f32_e32 v30, 0xb94c1982, v29
	v_fma_f32 v30, v29, v30, v9
	v_mul_f32_e32 v30, v29, v30
	v_fmac_f32_e32 v28, v28, v30
	v_mov_b32_e32 v30, 0xbab64f3b
	v_fmac_f32_e32 v30, 0x37d75334, v29
	v_fma_f32 v30, v29, v30, v10
	v_fma_f32 v30, v29, v30, v11
	v_fma_f32 v29, v29, v30, 1.0
	v_and_b32_e32 v30, 1, v27
	v_lshlrev_b32_e32 v27, 30, v27
	v_cmp_eq_u32_e32 vcc, 0, v30
	v_and_b32_e32 v27, 0x80000000, v27
	v_xor_b32_e32 v25, v25, v4
	v_cndmask_b32_e32 v28, v29, v28, vcc
	v_xor_b32_e32 v25, v25, v27
	v_xor_b32_e32 v25, v25, v28
	v_cmp_class_f32_e64 vcc, v4, s33
	v_cndmask_b32_e32 v4, v15, v25, vcc
	v_mul_f32_e32 v25, v24, v24
	v_mov_b32_e32 v27, 0x3c0881c4
	v_fmac_f32_e32 v27, 0xb94c1982, v25
	v_fma_f32 v27, v25, v27, v9
	v_mul_f32_e32 v27, v25, v27
	v_fmac_f32_e32 v24, v24, v27
	v_mov_b32_e32 v27, 0xbab64f3b
	v_fmac_f32_e32 v27, 0x37d75334, v25
	v_fma_f32 v27, v25, v27, v10
	v_fma_f32 v27, v25, v27, v11
	v_fma_f32 v25, v25, v27, 1.0
	v_and_b32_e32 v27, 1, v6
	v_cmp_eq_u32_e64 s[6:7], 0, v27
	v_lshlrev_b32_e32 v6, 30, v6
	v_cndmask_b32_e64 v24, -v24, v25, s[6:7]
	v_and_b32_e32 v6, 0x80000000, v6
	v_xor_b32_e32 v6, v6, v24
	v_mul_f32_e32 v24, v23, v23
	v_mov_b32_e32 v25, 0x3c0881c4
	v_fmac_f32_e32 v25, 0xb94c1982, v24
	v_fma_f32 v25, v24, v25, v9
	v_mul_f32_e32 v25, v24, v25
	v_fmac_f32_e32 v23, v23, v25
	v_mov_b32_e32 v25, 0xbab64f3b
	v_fmac_f32_e32 v25, 0x37d75334, v24
	v_fma_f32 v25, v24, v25, v10
	v_fma_f32 v25, v24, v25, v11
	v_fma_f32 v24, v24, v25, 1.0
	v_and_b32_e32 v25, 1, v22
	v_lshlrev_b32_e32 v22, 30, v22
	v_cmp_class_f32_e64 s[6:7], v20, s33
	v_cmp_eq_u32_e64 s[8:9], 0, v25
	v_and_b32_e32 v22, 0x80000000, v22
	v_xor_b32_e32 v20, v21, v20
	v_cndmask_b32_e64 v23, v24, v23, s[8:9]
	v_xor_b32_e32 v20, v20, v22
	v_xor_b32_e32 v20, v20, v23
	v_cndmask_b32_e64 v6, v15, v6, s[6:7]
	v_cndmask_b32_e64 v24, v15, v20, s[6:7]
	v_mov_b32_e32 v21, s47
	v_add_co_u32_e64 v20, s[6:7], s46, v0
	v_addc_co_u32_e64 v21, s[6:7], v21, v1, s[6:7]
	v_mul_f32_e32 v22, v19, v19
	global_load_dword v25, v[20:21], off
	v_mov_b32_e32 v20, 0x3c0881c4
	v_fmac_f32_e32 v20, 0xb94c1982, v22
	v_fma_f32 v20, v22, v20, v9
	v_mul_f32_e32 v23, v22, v20
	v_mov_b32_e32 v21, s49
	v_add_co_u32_e64 v20, s[6:7], s48, v0
	v_addc_co_u32_e64 v21, s[6:7], v21, v1, s[6:7]
	global_load_dword v27, v[20:21], off
	v_mov_b32_e32 v21, s51
	v_add_co_u32_e64 v20, s[6:7], s50, v0
	v_addc_co_u32_e64 v21, s[6:7], v21, v1, s[6:7]
	global_load_dword v28, v[20:21], off
	v_mov_b32_e32 v20, 0xbab64f3b
	v_fmac_f32_e32 v20, 0x37d75334, v22
	v_fma_f32 v20, v22, v20, v10
	v_fma_f32 v20, v22, v20, v11
	v_and_b32_e32 v21, 1, v18
	v_fmac_f32_e32 v19, v19, v23
	v_fma_f32 v20, v22, v20, 1.0
	v_cmp_eq_u32_e64 s[6:7], 0, v21
	v_lshlrev_b32_e32 v18, 30, v18
	v_cndmask_b32_e64 v19, -v19, v20, s[6:7]
	v_and_b32_e32 v18, 0x80000000, v18
	v_xor_b32_e32 v18, v18, v19
	v_cmp_class_f32_e64 s[6:7], v5, s33
	v_cndmask_b32_e64 v19, v15, v18, s[6:7]
	v_mul_f32_e32 v18, v17, v17
	v_mov_b32_e32 v20, 0x3c0881c4
	v_fmac_f32_e32 v20, 0xb94c1982, v18
	v_fma_f32 v20, v18, v20, v9
	v_mul_f32_e32 v20, v18, v20
	v_fmac_f32_e32 v17, v17, v20
	v_mov_b32_e32 v20, 0xbab64f3b
	v_fmac_f32_e32 v20, 0x37d75334, v18
	v_fma_f32 v20, v18, v20, v10
	v_fma_f32 v20, v18, v20, v11
	v_fma_f32 v18, v18, v20, 1.0
	v_and_b32_e32 v20, 1, v16
	v_lshlrev_b32_e32 v16, 30, v16
	v_cmp_eq_u32_e64 s[8:9], 0, v20
	v_and_b32_e32 v16, 0x80000000, v16
	v_xor_b32_e32 v5, v7, v5
	v_cndmask_b32_e64 v17, v18, v17, s[8:9]
	v_xor_b32_e32 v5, v5, v16
	v_xor_b32_e32 v5, v5, v17
	v_cndmask_b32_e64 v18, v15, v5, s[6:7]
	v_mul_f32_e32 v5, v26, v26
	v_mov_b32_e32 v7, 0x3c0881c4
	v_fmac_f32_e32 v7, 0xb94c1982, v5
	v_fma_f32 v7, v5, v7, v9
	v_mul_f32_e32 v7, v5, v7
	v_fmac_f32_e32 v26, v26, v7
	v_mov_b32_e32 v7, 0xbab64f3b
	v_fmac_f32_e32 v7, 0x37d75334, v5
	v_fma_f32 v7, v5, v7, v10
	v_fma_f32 v7, v5, v7, v11
	v_fma_f32 v5, v5, v7, 1.0
	v_and_b32_e32 v7, 1, v2
	v_cmp_eq_u32_e64 s[6:7], 0, v7
	v_lshlrev_b32_e32 v2, 30, v2
	v_cndmask_b32_e64 v5, -v26, v5, s[6:7]
	v_and_b32_e32 v2, 0x80000000, v2
	v_xor_b32_e32 v2, v2, v5
	v_cndmask_b32_e32 v16, v15, v2, vcc
	v_mul_f32_e32 v2, v18, v24
	v_mul_f32_e32 v7, v2, v16
	;; [unrolled: 1-line block ×3, first 2 shown]
	v_pk_mul_f32 v[20:21], v[6:7], v[16:17]
	v_pk_add_f32 v[22:23], v[6:7], v[16:17] neg_lo:[0,1] neg_hi:[0,1]
	v_mul_f32_e32 v17, v19, v24
	v_mul_f32_e32 v5, v17, v16
	v_fmac_f32_e32 v5, v18, v4
	buffer_store_dword v20, v8, s[0:3], 0 offen
	buffer_store_dword v23, v8, s[0:3], 0 offen offset:4
	buffer_store_dword v5, v8, s[0:3], 0 offen offset:8
	s_waitcnt vmcnt(5)
	buffer_store_dword v25, v8, s[0:3], 0 offen offset:12
	v_mul_f32_e32 v7, v2, v4
	v_mul_f32_e32 v5, v19, v16
	;; [unrolled: 1-line block ×3, first 2 shown]
	v_pk_mul_f32 v[20:21], v[6:7], v[4:5]
	v_fma_f32 v2, v17, v4, -v2
	v_pk_add_f32 v[22:23], v[6:7], v[4:5]
	buffer_store_dword v20, v8, s[0:3], 0 offen offset:16
	buffer_store_dword v23, v8, s[0:3], 0 offen offset:20
	;; [unrolled: 1-line block ×3, first 2 shown]
	s_waitcnt vmcnt(8)
	buffer_store_dword v27, v8, s[0:3], 0 offen offset:28
	v_xor_b32_e32 v2, 0x80000000, v24
	buffer_store_dword v2, v8, s[0:3], 0 offen offset:32
	v_add_u32_e32 v2, s17, v12
	s_add_i32 s17, s17, 4
	s_add_u32 s40, s40, s16
	s_addc_u32 s41, s41, 0
	s_add_u32 s42, s42, s16
	s_addc_u32 s43, s43, 0
	;; [unrolled: 2-line block ×5, first 2 shown]
	s_add_u32 s50, s50, s16
	v_pk_mul_f32 v[4:5], v[18:19], v[6:7] op_sel_hi:[1,0]
	s_addc_u32 s51, s51, 0
	buffer_store_dword v5, v8, s[0:3], 0 offen offset:40
	buffer_store_dword v4, v8, s[0:3], 0 offen offset:36
	s_waitcnt vmcnt(11)
	buffer_store_dword v28, v8, s[0:3], 0 offen offset:44
	s_cmpk_lg_i32 s17, 0x100
	v_add_u32_e32 v8, 48, v8
	buffer_store_dword v3, v2, s[0:3], 0 offen
	s_cbranch_scc0 .LBB6_26
.LBB6_2:                                ; =>This Inner Loop Header: Depth=1
	v_mov_b32_e32 v2, s41
	v_add_co_u32_e32 v4, vcc, s40, v0
	v_addc_co_u32_e32 v5, vcc, v2, v1, vcc
	global_load_dword v5, v[4:5], off
                                        ; implicit-def: $vgpr16
                                        ; implicit-def: $vgpr17
	s_waitcnt vmcnt(0)
	v_and_b32_e32 v7, 0x7fffffff, v5
	v_lshrrev_b32_e32 v2, 23, v7
	v_and_b32_e32 v4, 0x7fffff, v7
	v_cmp_nlt_f32_e64 s[12:13], |v5|, s20
	v_add_u32_e32 v6, 0xffffff88, v2
	v_or_b32_e32 v4, 0x800000, v4
	s_and_saveexec_b64 s[6:7], s[12:13]
	s_xor_b64 s[14:15], exec, s[6:7]
	s_cbranch_execz .LBB6_4
; %bb.3:                                ;   in Loop: Header=BB6_2 Depth=1
	v_cmp_lt_u32_e32 vcc, 63, v6
	v_cndmask_b32_e32 v2, 0, v13, vcc
	v_add_u32_e32 v2, v2, v6
	v_cmp_lt_u32_e64 s[6:7], 31, v2
	v_cndmask_b32_e64 v16, 0, v14, s[6:7]
	v_add_u32_e32 v2, v16, v2
	v_cmp_lt_u32_e64 s[8:9], 31, v2
	v_cndmask_b32_e64 v16, 0, v14, s[8:9]
	v_add_u32_e32 v30, v16, v2
	v_mad_u64_u32 v[16:17], s[10:11], v4, s21, 0
	v_mov_b32_e32 v2, v17
	v_mad_u64_u32 v[18:19], s[10:11], v4, s22, v[2:3]
	v_mov_b32_e32 v2, v19
	v_mad_u64_u32 v[20:21], s[10:11], v4, s23, v[2:3]
	v_mov_b32_e32 v2, v21
	v_mad_u64_u32 v[22:23], s[10:11], v4, s24, v[2:3]
	v_mov_b32_e32 v2, v23
	v_mad_u64_u32 v[24:25], s[10:11], v4, s25, v[2:3]
	v_mov_b32_e32 v2, v25
	v_mad_u64_u32 v[26:27], s[10:11], v4, s26, v[2:3]
	v_mov_b32_e32 v2, v27
	v_mad_u64_u32 v[28:29], s[10:11], v4, s27, v[2:3]
	v_cndmask_b32_e32 v17, v26, v22, vcc
	v_cndmask_b32_e32 v2, v28, v24, vcc
	;; [unrolled: 1-line block ×3, first 2 shown]
	v_cndmask_b32_e64 v19, v2, v17, s[6:7]
	v_cndmask_b32_e64 v2, v21, v2, s[6:7]
	v_cndmask_b32_e32 v21, v24, v20, vcc
	v_cndmask_b32_e64 v17, v17, v21, s[6:7]
	v_cndmask_b32_e32 v18, v22, v18, vcc
	v_cndmask_b32_e64 v2, v2, v19, s[8:9]
	v_cndmask_b32_e64 v19, v19, v17, s[8:9]
	v_sub_u32_e32 v23, 32, v30
	v_cndmask_b32_e64 v21, v21, v18, s[6:7]
	v_alignbit_b32 v24, v2, v19, v23
	v_cmp_eq_u32_e64 s[10:11], 0, v30
	v_cndmask_b32_e64 v17, v17, v21, s[8:9]
	v_cndmask_b32_e32 v16, v20, v16, vcc
	v_cndmask_b32_e64 v2, v24, v2, s[10:11]
	v_alignbit_b32 v22, v19, v17, v23
	v_cndmask_b32_e64 v16, v18, v16, s[6:7]
	v_cndmask_b32_e64 v19, v22, v19, s[10:11]
	v_bfe_u32 v25, v2, 29, 1
	v_cndmask_b32_e64 v16, v21, v16, s[8:9]
	v_alignbit_b32 v22, v2, v19, 30
	v_sub_u32_e32 v26, 0, v25
	v_alignbit_b32 v18, v17, v16, v23
	v_xor_b32_e32 v27, v22, v26
	v_cndmask_b32_e64 v17, v18, v17, s[10:11]
	v_alignbit_b32 v18, v19, v17, 30
	v_ffbh_u32_e32 v19, v27
	v_add_u32_e32 v19, 1, v19
	v_cmp_ne_u32_e32 vcc, v22, v26
	v_cndmask_b32_e32 v19, 33, v19, vcc
	v_alignbit_b32 v16, v17, v16, 30
	v_xor_b32_e32 v18, v18, v26
	v_sub_u32_e32 v20, 32, v19
	v_xor_b32_e32 v16, v16, v26
	v_alignbit_b32 v21, v27, v18, v20
	v_alignbit_b32 v16, v18, v16, v20
	;; [unrolled: 1-line block ×3, first 2 shown]
	v_ffbh_u32_e32 v18, v17
	v_min_u32_e32 v18, 32, v18
	v_lshrrev_b32_e32 v24, 29, v2
	v_sub_u32_e32 v20, 31, v18
	v_alignbit_b32 v16, v17, v16, v20
	v_lshlrev_b32_e32 v17, 31, v24
	v_or_b32_e32 v20, 0x33800000, v17
	v_add_lshl_u32 v18, v18, v19, 23
	v_lshrrev_b32_e32 v16, 9, v16
	v_sub_u32_e32 v18, v20, v18
	v_or_b32_e32 v16, v18, v16
	v_alignbit_b32 v18, v19, v21, 9
	v_or_b32_e32 v17, v18, v17
	v_xor_b32_e32 v17, 1.0, v17
	v_mul_f32_e32 v18, 0x3fc90fda, v17
	v_fma_f32 v19, v17, s28, -v18
	v_fmac_f32_e32 v19, 0x33a22168, v17
	v_fmac_f32_e32 v19, 0x3fc90fda, v16
	v_lshrrev_b32_e32 v2, 30, v2
	v_add_f32_e32 v17, v18, v19
	v_add_u32_e32 v16, v25, v2
.LBB6_4:                                ;   in Loop: Header=BB6_2 Depth=1
	s_or_saveexec_b64 s[6:7], s[14:15]
	v_mul_f32_e64 v2, |v5|, s29
	v_rndne_f32_e32 v2, v2
	s_xor_b64 exec, exec, s[6:7]
; %bb.5:                                ;   in Loop: Header=BB6_2 Depth=1
	v_cvt_i32_f32_e32 v16, v2
	v_fma_f32 v17, v2, s30, |v5|
	v_fmac_f32_e32 v17, 0xb3a22168, v2
	v_fmac_f32_e32 v17, 0xa7c234c4, v2
; %bb.6:                                ;   in Loop: Header=BB6_2 Depth=1
	s_or_b64 exec, exec, s[6:7]
                                        ; implicit-def: $vgpr18
                                        ; implicit-def: $vgpr19
	s_and_saveexec_b64 s[6:7], s[12:13]
	s_xor_b64 s[12:13], exec, s[6:7]
	s_cbranch_execz .LBB6_8
; %bb.7:                                ;   in Loop: Header=BB6_2 Depth=1
	v_cmp_lt_u32_e32 vcc, 63, v6
	v_cndmask_b32_e32 v2, 0, v13, vcc
	v_add_u32_e32 v2, v2, v6
	v_cmp_lt_u32_e64 s[6:7], 31, v2
	v_cndmask_b32_e64 v6, 0, v14, s[6:7]
	v_add_u32_e32 v2, v6, v2
	v_cmp_lt_u32_e64 s[8:9], 31, v2
	v_cndmask_b32_e64 v6, 0, v14, s[8:9]
	v_mad_u64_u32 v[18:19], s[10:11], v4, s21, 0
	v_add_u32_e32 v6, v6, v2
	v_mov_b32_e32 v2, v19
	v_mad_u64_u32 v[20:21], s[10:11], v4, s22, v[2:3]
	v_mov_b32_e32 v2, v21
	v_mad_u64_u32 v[22:23], s[10:11], v4, s23, v[2:3]
	;; [unrolled: 2-line block ×6, first 2 shown]
	v_cndmask_b32_e32 v19, v28, v24, vcc
	v_cndmask_b32_e32 v2, v30, v26, vcc
	;; [unrolled: 1-line block ×3, first 2 shown]
	v_cndmask_b32_e64 v4, v2, v19, s[6:7]
	v_cndmask_b32_e64 v2, v21, v2, s[6:7]
	v_cndmask_b32_e32 v21, v26, v22, vcc
	v_cndmask_b32_e64 v19, v19, v21, s[6:7]
	v_sub_u32_e32 v23, 32, v6
	v_cmp_eq_u32_e64 s[10:11], 0, v6
	v_cndmask_b32_e32 v6, v24, v20, vcc
	v_cndmask_b32_e64 v2, v2, v4, s[8:9]
	v_cndmask_b32_e64 v4, v4, v19, s[8:9]
	;; [unrolled: 1-line block ×3, first 2 shown]
	v_alignbit_b32 v25, v2, v4, v23
	v_cndmask_b32_e64 v19, v19, v20, s[8:9]
	v_cndmask_b32_e64 v2, v25, v2, s[10:11]
	v_alignbit_b32 v21, v4, v19, v23
	v_cndmask_b32_e32 v18, v22, v18, vcc
	v_cndmask_b32_e64 v4, v21, v4, s[10:11]
	v_bfe_u32 v25, v2, 29, 1
	v_cndmask_b32_e64 v6, v6, v18, s[6:7]
	v_alignbit_b32 v21, v2, v4, 30
	v_sub_u32_e32 v26, 0, v25
	v_cndmask_b32_e64 v6, v20, v6, s[8:9]
	v_xor_b32_e32 v27, v21, v26
	v_alignbit_b32 v18, v19, v6, v23
	v_cndmask_b32_e64 v18, v18, v19, s[10:11]
	v_ffbh_u32_e32 v19, v27
	v_add_u32_e32 v19, 1, v19
	v_cmp_ne_u32_e32 vcc, v21, v26
	v_alignbit_b32 v4, v4, v18, 30
	v_cndmask_b32_e32 v19, 33, v19, vcc
	v_alignbit_b32 v6, v18, v6, 30
	v_xor_b32_e32 v4, v4, v26
	v_sub_u32_e32 v20, 32, v19
	v_xor_b32_e32 v6, v6, v26
	v_alignbit_b32 v21, v27, v4, v20
	v_alignbit_b32 v4, v4, v6, v20
	;; [unrolled: 1-line block ×3, first 2 shown]
	v_ffbh_u32_e32 v18, v6
	v_min_u32_e32 v18, 32, v18
	v_lshrrev_b32_e32 v24, 29, v2
	v_sub_u32_e32 v20, 31, v18
	v_alignbit_b32 v4, v6, v4, v20
	v_lshlrev_b32_e32 v6, 31, v24
	v_or_b32_e32 v20, 0x33800000, v6
	v_add_lshl_u32 v18, v18, v19, 23
	v_lshrrev_b32_e32 v4, 9, v4
	v_sub_u32_e32 v18, v20, v18
	v_or_b32_e32 v4, v18, v4
	v_alignbit_b32 v18, v19, v21, 9
	v_or_b32_e32 v6, v18, v6
	v_xor_b32_e32 v6, 1.0, v6
	v_mul_f32_e32 v18, 0x3fc90fda, v6
	v_fma_f32 v19, v6, s28, -v18
	v_fmac_f32_e32 v19, 0x33a22168, v6
	v_fmac_f32_e32 v19, 0x3fc90fda, v4
	v_lshrrev_b32_e32 v2, 30, v2
	v_add_f32_e32 v19, v18, v19
	v_add_u32_e32 v18, v25, v2
                                        ; implicit-def: $vgpr2
	s_andn2_saveexec_b64 s[6:7], s[12:13]
	s_cbranch_execnz .LBB6_9
	s_branch .LBB6_10
.LBB6_8:                                ;   in Loop: Header=BB6_2 Depth=1
	s_andn2_saveexec_b64 s[6:7], s[12:13]
.LBB6_9:                                ;   in Loop: Header=BB6_2 Depth=1
	v_cvt_i32_f32_e32 v18, v2
	v_fma_f32 v19, v2, s30, |v5|
	v_fmac_f32_e32 v19, 0xb3a22168, v2
	v_fmac_f32_e32 v19, 0xa7c234c4, v2
.LBB6_10:                               ;   in Loop: Header=BB6_2 Depth=1
	s_or_b64 exec, exec, s[6:7]
	v_mov_b32_e32 v2, s43
	v_add_co_u32_e32 v20, vcc, s42, v0
	v_addc_co_u32_e32 v21, vcc, v2, v1, vcc
	global_load_dword v20, v[20:21], off
                                        ; implicit-def: $vgpr22
                                        ; implicit-def: $vgpr23
	s_waitcnt vmcnt(0)
	v_and_b32_e32 v21, 0x7fffffff, v20
	v_lshrrev_b32_e32 v2, 23, v21
	v_and_b32_e32 v4, 0x7fffff, v21
	v_cmp_nlt_f32_e64 s[12:13], |v20|, s20
	v_add_u32_e32 v25, 0xffffff88, v2
	v_or_b32_e32 v4, 0x800000, v4
	s_and_saveexec_b64 s[6:7], s[12:13]
	s_xor_b64 s[14:15], exec, s[6:7]
	s_cbranch_execz .LBB6_12
; %bb.11:                               ;   in Loop: Header=BB6_2 Depth=1
	v_cmp_lt_u32_e32 vcc, 63, v25
	v_cndmask_b32_e32 v2, 0, v13, vcc
	v_add_u32_e32 v2, v2, v25
	v_cmp_lt_u32_e64 s[6:7], 31, v2
	v_cndmask_b32_e64 v6, 0, v14, s[6:7]
	v_add_u32_e32 v2, v6, v2
	v_cmp_lt_u32_e64 s[8:9], 31, v2
	v_cndmask_b32_e64 v6, 0, v14, s[8:9]
	v_mad_u64_u32 v[22:23], s[10:11], v4, s21, 0
	v_add_u32_e32 v6, v6, v2
	v_mov_b32_e32 v2, v23
	v_mad_u64_u32 v[26:27], s[10:11], v4, s22, v[2:3]
	v_mov_b32_e32 v2, v27
	v_mad_u64_u32 v[28:29], s[10:11], v4, s23, v[2:3]
	v_mov_b32_e32 v2, v29
	v_mad_u64_u32 v[30:31], s[10:11], v4, s24, v[2:3]
	v_mov_b32_e32 v2, v31
	v_mad_u64_u32 v[32:33], s[10:11], v4, s25, v[2:3]
	v_mov_b32_e32 v2, v33
	v_mad_u64_u32 v[34:35], s[10:11], v4, s26, v[2:3]
	v_mov_b32_e32 v2, v35
	v_mad_u64_u32 v[36:37], s[10:11], v4, s27, v[2:3]
	v_cndmask_b32_e32 v23, v34, v30, vcc
	v_cndmask_b32_e32 v2, v36, v32, vcc
	;; [unrolled: 1-line block ×3, first 2 shown]
	v_cndmask_b32_e64 v24, v2, v23, s[6:7]
	v_cndmask_b32_e64 v2, v27, v2, s[6:7]
	v_cndmask_b32_e32 v27, v32, v28, vcc
	v_cndmask_b32_e64 v23, v23, v27, s[6:7]
	v_sub_u32_e32 v29, 32, v6
	v_cmp_eq_u32_e64 s[10:11], 0, v6
	v_cndmask_b32_e32 v6, v30, v26, vcc
	v_cndmask_b32_e64 v2, v2, v24, s[8:9]
	v_cndmask_b32_e64 v24, v24, v23, s[8:9]
	;; [unrolled: 1-line block ×3, first 2 shown]
	v_alignbit_b32 v31, v2, v24, v29
	v_cndmask_b32_e64 v23, v23, v26, s[8:9]
	v_cndmask_b32_e32 v22, v28, v22, vcc
	v_cndmask_b32_e64 v2, v31, v2, s[10:11]
	v_alignbit_b32 v27, v24, v23, v29
	v_cndmask_b32_e64 v6, v6, v22, s[6:7]
	v_cndmask_b32_e64 v24, v27, v24, s[10:11]
	v_bfe_u32 v31, v2, 29, 1
	v_cndmask_b32_e64 v6, v26, v6, s[8:9]
	v_alignbit_b32 v27, v2, v24, 30
	v_sub_u32_e32 v32, 0, v31
	v_alignbit_b32 v22, v23, v6, v29
	v_xor_b32_e32 v33, v27, v32
	v_cndmask_b32_e64 v22, v22, v23, s[10:11]
	v_alignbit_b32 v23, v24, v22, 30
	v_ffbh_u32_e32 v24, v33
	v_add_u32_e32 v24, 1, v24
	v_cmp_ne_u32_e32 vcc, v27, v32
	v_cndmask_b32_e32 v24, 33, v24, vcc
	v_alignbit_b32 v6, v22, v6, 30
	v_xor_b32_e32 v23, v23, v32
	v_sub_u32_e32 v26, 32, v24
	v_xor_b32_e32 v6, v6, v32
	v_alignbit_b32 v27, v33, v23, v26
	v_alignbit_b32 v6, v23, v6, v26
	;; [unrolled: 1-line block ×3, first 2 shown]
	v_ffbh_u32_e32 v23, v22
	v_min_u32_e32 v23, 32, v23
	v_lshrrev_b32_e32 v30, 29, v2
	v_sub_u32_e32 v26, 31, v23
	v_alignbit_b32 v6, v22, v6, v26
	v_lshlrev_b32_e32 v22, 31, v30
	v_or_b32_e32 v26, 0x33800000, v22
	v_add_lshl_u32 v23, v23, v24, 23
	v_lshrrev_b32_e32 v6, 9, v6
	v_sub_u32_e32 v23, v26, v23
	v_or_b32_e32 v6, v23, v6
	v_alignbit_b32 v23, v24, v27, 9
	v_or_b32_e32 v22, v23, v22
	v_xor_b32_e32 v22, 1.0, v22
	v_mul_f32_e32 v23, 0x3fc90fda, v22
	v_fma_f32 v24, v22, s28, -v23
	v_fmac_f32_e32 v24, 0x33a22168, v22
	v_fmac_f32_e32 v24, 0x3fc90fda, v6
	v_lshrrev_b32_e32 v2, 30, v2
	v_add_f32_e32 v23, v23, v24
	v_add_u32_e32 v22, v31, v2
.LBB6_12:                               ;   in Loop: Header=BB6_2 Depth=1
	s_or_saveexec_b64 s[6:7], s[14:15]
	v_mul_f32_e64 v2, |v20|, s29
	v_rndne_f32_e32 v2, v2
	s_xor_b64 exec, exec, s[6:7]
; %bb.13:                               ;   in Loop: Header=BB6_2 Depth=1
	v_cvt_i32_f32_e32 v22, v2
	v_fma_f32 v23, v2, s30, |v20|
	v_fmac_f32_e32 v23, 0xb3a22168, v2
	v_fmac_f32_e32 v23, 0xa7c234c4, v2
; %bb.14:                               ;   in Loop: Header=BB6_2 Depth=1
	s_or_b64 exec, exec, s[6:7]
                                        ; implicit-def: $vgpr6
                                        ; implicit-def: $vgpr24
	s_and_saveexec_b64 s[6:7], s[12:13]
	s_xor_b64 s[12:13], exec, s[6:7]
	s_cbranch_execz .LBB6_16
; %bb.15:                               ;   in Loop: Header=BB6_2 Depth=1
	v_cmp_lt_u32_e32 vcc, 63, v25
	v_cndmask_b32_e32 v2, 0, v13, vcc
	v_add_u32_e32 v2, v2, v25
	v_cmp_lt_u32_e64 s[6:7], 31, v2
	v_cndmask_b32_e64 v6, 0, v14, s[6:7]
	v_add_u32_e32 v2, v6, v2
	v_cmp_lt_u32_e64 s[8:9], 31, v2
	v_cndmask_b32_e64 v6, 0, v14, s[8:9]
	v_mad_u64_u32 v[24:25], s[10:11], v4, s21, 0
	v_add_u32_e32 v6, v6, v2
	v_mov_b32_e32 v2, v25
	v_mad_u64_u32 v[26:27], s[10:11], v4, s22, v[2:3]
	v_mov_b32_e32 v2, v27
	v_mad_u64_u32 v[28:29], s[10:11], v4, s23, v[2:3]
	;; [unrolled: 2-line block ×6, first 2 shown]
	v_cndmask_b32_e32 v25, v34, v30, vcc
	v_cndmask_b32_e32 v2, v36, v32, vcc
	;; [unrolled: 1-line block ×3, first 2 shown]
	v_cndmask_b32_e64 v4, v2, v25, s[6:7]
	v_cndmask_b32_e64 v2, v27, v2, s[6:7]
	v_cndmask_b32_e32 v27, v32, v28, vcc
	v_cndmask_b32_e64 v25, v25, v27, s[6:7]
	v_sub_u32_e32 v29, 32, v6
	v_cmp_eq_u32_e64 s[10:11], 0, v6
	v_cndmask_b32_e32 v6, v30, v26, vcc
	v_cndmask_b32_e64 v2, v2, v4, s[8:9]
	v_cndmask_b32_e64 v4, v4, v25, s[8:9]
	;; [unrolled: 1-line block ×3, first 2 shown]
	v_alignbit_b32 v31, v2, v4, v29
	v_cndmask_b32_e64 v25, v25, v26, s[8:9]
	v_cndmask_b32_e64 v2, v31, v2, s[10:11]
	v_alignbit_b32 v27, v4, v25, v29
	v_cndmask_b32_e32 v24, v28, v24, vcc
	v_cndmask_b32_e64 v4, v27, v4, s[10:11]
	v_bfe_u32 v31, v2, 29, 1
	v_cndmask_b32_e64 v6, v6, v24, s[6:7]
	v_alignbit_b32 v27, v2, v4, 30
	v_sub_u32_e32 v32, 0, v31
	v_cndmask_b32_e64 v6, v26, v6, s[8:9]
	v_xor_b32_e32 v33, v27, v32
	v_alignbit_b32 v24, v25, v6, v29
	v_cndmask_b32_e64 v24, v24, v25, s[10:11]
	v_ffbh_u32_e32 v25, v33
	v_add_u32_e32 v25, 1, v25
	v_cmp_ne_u32_e32 vcc, v27, v32
	v_alignbit_b32 v4, v4, v24, 30
	v_cndmask_b32_e32 v25, 33, v25, vcc
	v_alignbit_b32 v6, v24, v6, 30
	v_xor_b32_e32 v4, v4, v32
	v_sub_u32_e32 v26, 32, v25
	v_xor_b32_e32 v6, v6, v32
	v_alignbit_b32 v27, v33, v4, v26
	v_alignbit_b32 v4, v4, v6, v26
	;; [unrolled: 1-line block ×3, first 2 shown]
	v_ffbh_u32_e32 v24, v6
	v_min_u32_e32 v24, 32, v24
	v_lshrrev_b32_e32 v30, 29, v2
	v_sub_u32_e32 v26, 31, v24
	v_alignbit_b32 v4, v6, v4, v26
	v_lshlrev_b32_e32 v6, 31, v30
	v_or_b32_e32 v26, 0x33800000, v6
	v_add_lshl_u32 v24, v24, v25, 23
	v_lshrrev_b32_e32 v4, 9, v4
	v_sub_u32_e32 v24, v26, v24
	v_or_b32_e32 v4, v24, v4
	v_alignbit_b32 v24, v25, v27, 9
	v_or_b32_e32 v6, v24, v6
	v_xor_b32_e32 v6, 1.0, v6
	v_mul_f32_e32 v24, 0x3fc90fda, v6
	v_fma_f32 v25, v6, s28, -v24
	v_fmac_f32_e32 v25, 0x33a22168, v6
	v_fmac_f32_e32 v25, 0x3fc90fda, v4
	v_lshrrev_b32_e32 v2, 30, v2
	v_add_f32_e32 v24, v24, v25
	v_add_u32_e32 v6, v31, v2
                                        ; implicit-def: $vgpr2
	s_andn2_saveexec_b64 s[6:7], s[12:13]
	s_cbranch_execnz .LBB6_17
	s_branch .LBB6_18
.LBB6_16:                               ;   in Loop: Header=BB6_2 Depth=1
	s_andn2_saveexec_b64 s[6:7], s[12:13]
.LBB6_17:                               ;   in Loop: Header=BB6_2 Depth=1
	v_cvt_i32_f32_e32 v6, v2
	v_fma_f32 v24, v2, s30, |v20|
	v_fmac_f32_e32 v24, 0xb3a22168, v2
	v_fmac_f32_e32 v24, 0xa7c234c4, v2
.LBB6_18:                               ;   in Loop: Header=BB6_2 Depth=1
	s_or_b64 exec, exec, s[6:7]
	v_mov_b32_e32 v2, s45
	v_add_co_u32_e32 v26, vcc, s44, v0
	v_addc_co_u32_e32 v27, vcc, v2, v1, vcc
	global_load_dword v4, v[26:27], off
                                        ; implicit-def: $vgpr27
                                        ; implicit-def: $vgpr28
	s_waitcnt vmcnt(0)
	v_and_b32_e32 v25, 0x7fffffff, v4
	v_lshrrev_b32_e32 v2, 23, v25
	v_and_b32_e32 v26, 0x7fffff, v25
	v_cmp_nlt_f32_e64 s[12:13], |v4|, s20
	v_add_u32_e32 v30, 0xffffff88, v2
	v_or_b32_e32 v29, 0x800000, v26
	s_and_saveexec_b64 s[6:7], s[12:13]
	s_xor_b64 s[14:15], exec, s[6:7]
	s_cbranch_execz .LBB6_20
; %bb.19:                               ;   in Loop: Header=BB6_2 Depth=1
	v_cmp_lt_u32_e32 vcc, 63, v30
	v_cndmask_b32_e32 v2, 0, v13, vcc
	v_add_u32_e32 v2, v2, v30
	v_cmp_lt_u32_e64 s[6:7], 31, v2
	v_cndmask_b32_e64 v26, 0, v14, s[6:7]
	v_add_u32_e32 v2, v26, v2
	v_cmp_lt_u32_e64 s[8:9], 31, v2
	v_cndmask_b32_e64 v26, 0, v14, s[8:9]
	v_add_u32_e32 v28, v26, v2
	v_mad_u64_u32 v[26:27], s[10:11], v29, s21, 0
	v_mov_b32_e32 v2, v27
	v_mad_u64_u32 v[32:33], s[10:11], v29, s22, v[2:3]
	v_mov_b32_e32 v2, v33
	;; [unrolled: 2-line block ×6, first 2 shown]
	v_mad_u64_u32 v[42:43], s[10:11], v29, s27, v[2:3]
	v_cndmask_b32_e32 v27, v40, v36, vcc
	v_cndmask_b32_e32 v2, v42, v38, vcc
	;; [unrolled: 1-line block ×3, first 2 shown]
	v_cndmask_b32_e64 v31, v2, v27, s[6:7]
	v_cndmask_b32_e64 v2, v33, v2, s[6:7]
	v_cndmask_b32_e32 v33, v38, v34, vcc
	v_cndmask_b32_e64 v27, v27, v33, s[6:7]
	v_sub_u32_e32 v35, 32, v28
	v_cmp_eq_u32_e64 s[10:11], 0, v28
	v_cndmask_b32_e32 v28, v36, v32, vcc
	v_cndmask_b32_e64 v2, v2, v31, s[8:9]
	v_cndmask_b32_e64 v31, v31, v27, s[8:9]
	;; [unrolled: 1-line block ×3, first 2 shown]
	v_alignbit_b32 v37, v2, v31, v35
	v_cndmask_b32_e64 v27, v27, v32, s[8:9]
	v_cndmask_b32_e32 v26, v34, v26, vcc
	v_cndmask_b32_e64 v2, v37, v2, s[10:11]
	v_alignbit_b32 v33, v31, v27, v35
	v_cndmask_b32_e64 v26, v28, v26, s[6:7]
	v_cndmask_b32_e64 v31, v33, v31, s[10:11]
	v_bfe_u32 v37, v2, 29, 1
	v_cndmask_b32_e64 v26, v32, v26, s[8:9]
	v_alignbit_b32 v33, v2, v31, 30
	v_sub_u32_e32 v38, 0, v37
	v_alignbit_b32 v28, v27, v26, v35
	v_xor_b32_e32 v39, v33, v38
	v_cndmask_b32_e64 v27, v28, v27, s[10:11]
	v_alignbit_b32 v28, v31, v27, 30
	v_ffbh_u32_e32 v31, v39
	v_add_u32_e32 v31, 1, v31
	v_cmp_ne_u32_e32 vcc, v33, v38
	v_cndmask_b32_e32 v31, 33, v31, vcc
	v_alignbit_b32 v26, v27, v26, 30
	v_xor_b32_e32 v28, v28, v38
	v_sub_u32_e32 v32, 32, v31
	v_xor_b32_e32 v26, v26, v38
	v_alignbit_b32 v33, v39, v28, v32
	v_alignbit_b32 v26, v28, v26, v32
	;; [unrolled: 1-line block ×3, first 2 shown]
	v_ffbh_u32_e32 v28, v27
	v_min_u32_e32 v28, 32, v28
	v_lshrrev_b32_e32 v36, 29, v2
	v_sub_u32_e32 v32, 31, v28
	v_alignbit_b32 v26, v27, v26, v32
	v_lshlrev_b32_e32 v27, 31, v36
	v_or_b32_e32 v32, 0x33800000, v27
	v_add_lshl_u32 v28, v28, v31, 23
	v_lshrrev_b32_e32 v26, 9, v26
	v_sub_u32_e32 v28, v32, v28
	v_or_b32_e32 v26, v28, v26
	v_alignbit_b32 v28, v31, v33, 9
	v_or_b32_e32 v27, v28, v27
	v_xor_b32_e32 v27, 1.0, v27
	v_mul_f32_e32 v28, 0x3fc90fda, v27
	v_fma_f32 v31, v27, s28, -v28
	v_fmac_f32_e32 v31, 0x33a22168, v27
	v_fmac_f32_e32 v31, 0x3fc90fda, v26
	v_lshrrev_b32_e32 v2, 30, v2
	v_add_f32_e32 v28, v28, v31
	v_add_u32_e32 v27, v37, v2
.LBB6_20:                               ;   in Loop: Header=BB6_2 Depth=1
	s_or_saveexec_b64 s[6:7], s[14:15]
	v_mul_f32_e64 v2, |v4|, s29
	v_rndne_f32_e32 v31, v2
	s_xor_b64 exec, exec, s[6:7]
; %bb.21:                               ;   in Loop: Header=BB6_2 Depth=1
	v_cvt_i32_f32_e32 v27, v31
	v_fma_f32 v28, v31, s30, |v4|
	v_fmac_f32_e32 v28, 0xb3a22168, v31
	v_fmac_f32_e32 v28, 0xa7c234c4, v31
; %bb.22:                               ;   in Loop: Header=BB6_2 Depth=1
	s_or_b64 exec, exec, s[6:7]
                                        ; implicit-def: $vgpr2
                                        ; implicit-def: $vgpr26
	s_and_saveexec_b64 s[6:7], s[12:13]
	s_xor_b64 s[12:13], exec, s[6:7]
	s_cbranch_execz .LBB6_24
; %bb.23:                               ;   in Loop: Header=BB6_2 Depth=1
	v_cmp_lt_u32_e32 vcc, 63, v30
	v_cndmask_b32_e32 v2, 0, v13, vcc
	v_add_u32_e32 v2, v2, v30
	v_cmp_lt_u32_e64 s[6:7], 31, v2
	v_cndmask_b32_e64 v26, 0, v14, s[6:7]
	v_add_u32_e32 v2, v26, v2
	v_cmp_lt_u32_e64 s[8:9], 31, v2
	v_cndmask_b32_e64 v26, 0, v14, s[8:9]
	v_mad_u64_u32 v[30:31], s[10:11], v29, s21, 0
	v_add_u32_e32 v26, v26, v2
	v_mov_b32_e32 v2, v31
	v_mad_u64_u32 v[32:33], s[10:11], v29, s22, v[2:3]
	v_mov_b32_e32 v2, v33
	v_mad_u64_u32 v[34:35], s[10:11], v29, s23, v[2:3]
	v_mov_b32_e32 v2, v35
	v_mad_u64_u32 v[36:37], s[10:11], v29, s24, v[2:3]
	v_mov_b32_e32 v2, v37
	v_mad_u64_u32 v[38:39], s[10:11], v29, s25, v[2:3]
	v_mov_b32_e32 v2, v39
	v_mad_u64_u32 v[40:41], s[10:11], v29, s26, v[2:3]
	v_mov_b32_e32 v2, v41
	v_mad_u64_u32 v[42:43], s[10:11], v29, s27, v[2:3]
	v_cndmask_b32_e32 v31, v40, v36, vcc
	v_cndmask_b32_e32 v2, v42, v38, vcc
	;; [unrolled: 1-line block ×3, first 2 shown]
	v_cndmask_b32_e64 v29, v2, v31, s[6:7]
	v_cndmask_b32_e64 v2, v33, v2, s[6:7]
	v_cndmask_b32_e32 v33, v38, v34, vcc
	v_cndmask_b32_e64 v31, v31, v33, s[6:7]
	v_sub_u32_e32 v35, 32, v26
	v_cmp_eq_u32_e64 s[10:11], 0, v26
	v_cndmask_b32_e32 v26, v36, v32, vcc
	v_cndmask_b32_e64 v2, v2, v29, s[8:9]
	v_cndmask_b32_e64 v29, v29, v31, s[8:9]
	v_cndmask_b32_e64 v32, v33, v26, s[6:7]
	v_alignbit_b32 v37, v2, v29, v35
	v_cndmask_b32_e64 v31, v31, v32, s[8:9]
	v_cndmask_b32_e64 v2, v37, v2, s[10:11]
	v_alignbit_b32 v33, v29, v31, v35
	v_cndmask_b32_e32 v30, v34, v30, vcc
	v_cndmask_b32_e64 v29, v33, v29, s[10:11]
	v_bfe_u32 v37, v2, 29, 1
	v_cndmask_b32_e64 v26, v26, v30, s[6:7]
	v_alignbit_b32 v33, v2, v29, 30
	v_sub_u32_e32 v38, 0, v37
	v_cndmask_b32_e64 v26, v32, v26, s[8:9]
	v_xor_b32_e32 v39, v33, v38
	v_alignbit_b32 v30, v31, v26, v35
	v_cndmask_b32_e64 v30, v30, v31, s[10:11]
	v_ffbh_u32_e32 v31, v39
	v_add_u32_e32 v31, 1, v31
	v_cmp_ne_u32_e32 vcc, v33, v38
	v_alignbit_b32 v29, v29, v30, 30
	v_cndmask_b32_e32 v31, 33, v31, vcc
	v_alignbit_b32 v26, v30, v26, 30
	v_xor_b32_e32 v29, v29, v38
	v_sub_u32_e32 v32, 32, v31
	v_xor_b32_e32 v26, v26, v38
	v_alignbit_b32 v33, v39, v29, v32
	v_alignbit_b32 v26, v29, v26, v32
	v_alignbit_b32 v29, v33, v26, 9
	v_ffbh_u32_e32 v30, v29
	v_min_u32_e32 v30, 32, v30
	v_lshrrev_b32_e32 v36, 29, v2
	v_sub_u32_e32 v32, 31, v30
	v_alignbit_b32 v26, v29, v26, v32
	v_lshlrev_b32_e32 v29, 31, v36
	v_or_b32_e32 v32, 0x33800000, v29
	v_add_lshl_u32 v30, v30, v31, 23
	v_lshrrev_b32_e32 v26, 9, v26
	v_sub_u32_e32 v30, v32, v30
	v_or_b32_e32 v26, v30, v26
	v_alignbit_b32 v30, v31, v33, 9
	v_or_b32_e32 v29, v30, v29
	v_xor_b32_e32 v29, 1.0, v29
	v_mul_f32_e32 v30, 0x3fc90fda, v29
	v_fma_f32 v31, v29, s28, -v30
	v_fmac_f32_e32 v31, 0x33a22168, v29
	v_fmac_f32_e32 v31, 0x3fc90fda, v26
	v_lshrrev_b32_e32 v2, 30, v2
	v_add_f32_e32 v26, v30, v31
	v_add_u32_e32 v2, v37, v2
                                        ; implicit-def: $vgpr31
	s_andn2_saveexec_b64 s[6:7], s[12:13]
	s_cbranch_execz .LBB6_1
	s_branch .LBB6_25
.LBB6_24:                               ;   in Loop: Header=BB6_2 Depth=1
	s_andn2_saveexec_b64 s[6:7], s[12:13]
	s_cbranch_execz .LBB6_1
.LBB6_25:                               ;   in Loop: Header=BB6_2 Depth=1
	v_cvt_i32_f32_e32 v2, v31
	v_fma_f32 v26, v31, s30, |v4|
	v_fmac_f32_e32 v26, 0xb3a22168, v31
	v_fmac_f32_e32 v26, 0xa7c234c4, v31
	s_branch .LBB6_1
.LBB6_26:
	s_load_dwordx2 s[6:7], s[4:5], 0x0
	s_load_dwordx4 s[24:27], s[4:5], 0x48
	buffer_load_dword v0, off, s[0:3], 0 offset:280
	buffer_load_dword v2, off, s[0:3], 0 offset:296
	;; [unrolled: 1-line block ×5, first 2 shown]
	s_mov_b32 s4, 0x40000
	s_waitcnt lgkmcnt(0)
	s_max_i32 s33, s7, 1
	s_max_i32 s40, s6, 1
	s_add_u32 s22, s36, 8
	s_mov_b32 s29, 0
	s_addc_u32 s23, s37, 0
	s_movk_i32 s41, 0x46
	s_movk_i32 s42, 0x45
	s_mov_b32 s43, 0xf800000
	s_mov_b32 s30, 0x42340000
	;; [unrolled: 1-line block ×3, first 2 shown]
	v_mov_b32_e32 v20, 0
	v_mov_b32_e32 v21, 0x260
	;; [unrolled: 1-line block ×3, first 2 shown]
	s_waitcnt vmcnt(0)
	buffer_store_dword v0, off, s[0:3], 0 offset:4000 ; 4-byte Folded Spill
	s_nop 0
	buffer_store_dword v1, off, s[0:3], 0 offset:4004 ; 4-byte Folded Spill
	buffer_load_dword v5, off, s[0:3], 0 offset:356
	s_waitcnt vmcnt(0)
	buffer_store_dword v4, off, s[0:3], 0 offset:4016 ; 4-byte Folded Spill
	s_nop 0
	buffer_store_dword v5, off, s[0:3], 0 offset:4020 ; 4-byte Folded Spill
	buffer_load_dword v7, off, s[0:3], 0 offset:360
	;; [unrolled: 5-line block ×4, first 2 shown]
	s_waitcnt vmcnt(0)
	buffer_store_dword v0, off, s[0:3], 0 offset:4032 ; 4-byte Folded Spill
	buffer_load_dword v0, off, s[0:3], 0 offset:392
	s_nop 0
	buffer_load_dword v2, off, s[0:3], 0 offset:376
	buffer_load_dword v1, off, s[0:3], 0 offset:420
	;; [unrolled: 1-line block ×3, first 2 shown]
	s_waitcnt vmcnt(1)
	buffer_store_dword v1, off, s[0:3], 0 offset:4052 ; 4-byte Folded Spill
	s_waitcnt vmcnt(1)
	buffer_store_dword v2, off, s[0:3], 0 offset:4044 ; 4-byte Folded Spill
	s_nop 0
	buffer_store_dword v3, off, s[0:3], 0 offset:4048 ; 4-byte Folded Spill
	buffer_load_dword v2, off, s[0:3], 0 offset:404
	s_nop 0
	buffer_load_dword v4, off, s[0:3], 0 offset:408
	buffer_load_dword v3, off, s[0:3], 0 offset:452
	s_waitcnt vmcnt(0)
	buffer_store_dword v2, off, s[0:3], 0 offset:4056 ; 4-byte Folded Spill
	s_nop 0
	buffer_store_dword v3, off, s[0:3], 0 offset:4060 ; 4-byte Folded Spill
	buffer_load_dword v5, off, s[0:3], 0 offset:456
	s_waitcnt vmcnt(0)
	buffer_store_dword v4, off, s[0:3], 0 offset:4064 ; 4-byte Folded Spill
	s_nop 0
	buffer_store_dword v5, off, s[0:3], 0 offset:4068 ; 4-byte Folded Spill
	;; [unrolled: 5-line block ×3, first 2 shown]
	buffer_load_dword v0, off, s[0:3], 0 offset:484
	s_waitcnt vmcnt(0)
	buffer_store_dword v0, off, s[0:3], 0 offset:4072 ; 4-byte Folded Spill
	buffer_load_dword v0, off, s[0:3], 0 offset:488
	s_nop 0
	buffer_load_dword v2, off, s[0:3], 0 offset:472
	buffer_load_dword v1, off, s[0:3], 0 offset:516
	;; [unrolled: 1-line block ×3, first 2 shown]
	s_waitcnt vmcnt(1)
	buffer_store_dword v1, off, s[0:3], 0 offset:4092 ; 4-byte Folded Spill
	s_waitcnt vmcnt(1)
	buffer_store_dword v2, off, s[0:3], 0 offset:4084 ; 4-byte Folded Spill
	s_nop 0
	buffer_store_dword v3, off, s[0:3], 0 offset:4088 ; 4-byte Folded Spill
	buffer_load_dword v2, off, s[0:3], 0 offset:500
	s_nop 0
	buffer_load_dword v4, off, s[0:3], 0 offset:504
	buffer_load_dword v3, off, s[0:3], 0 offset:548
	s_waitcnt vmcnt(0)
	buffer_store_dword v2, off, s[0:3], s4  ; 4-byte Folded Spill
	s_nop 0
	buffer_store_dword v3, off, s[0:3], s4 offset:4 ; 4-byte Folded Spill
	buffer_load_dword v5, off, s[0:3], 0 offset:552
	s_mov_b32 s4, 0x40200
	s_waitcnt vmcnt(0)
	buffer_store_dword v4, off, s[0:3], s4  ; 4-byte Folded Spill
	s_nop 0
	buffer_store_dword v5, off, s[0:3], s4 offset:4 ; 4-byte Folded Spill
	buffer_load_dword v1, off, s[0:3], 0 offset:536
	s_mov_b32 s4, 0x40400
	s_waitcnt vmcnt(0)
	buffer_store_dword v0, off, s[0:3], 0 offset:4076 ; 4-byte Folded Spill
	s_nop 0
	buffer_store_dword v1, off, s[0:3], 0 offset:4080 ; 4-byte Folded Spill
	buffer_load_dword v0, off, s[0:3], 0 offset:580
	s_waitcnt vmcnt(0)
	buffer_store_dword v0, off, s[0:3], s4  ; 4-byte Folded Spill
	buffer_load_dword v0, off, s[0:3], 0 offset:584
	s_nop 0
	buffer_load_dword v2, off, s[0:3], 0 offset:568
	buffer_load_dword v1, off, s[0:3], 0 offset:612
	;; [unrolled: 1-line block ×3, first 2 shown]
	s_mov_b32 s4, 0x40900
	s_waitcnt vmcnt(1)
	buffer_store_dword v1, off, s[0:3], s4  ; 4-byte Folded Spill
	s_mov_b32 s4, 0x40700
	s_waitcnt vmcnt(1)
	buffer_store_dword v2, off, s[0:3], s4  ; 4-byte Folded Spill
	s_nop 0
	buffer_store_dword v3, off, s[0:3], s4 offset:4 ; 4-byte Folded Spill
	buffer_load_dword v2, off, s[0:3], 0 offset:596
	s_nop 0
	buffer_load_dword v4, off, s[0:3], 0 offset:600
	buffer_load_dword v3, off, s[0:3], 0 offset:644
	s_mov_b32 s4, 0x40a00
	s_waitcnt vmcnt(0)
	buffer_store_dword v2, off, s[0:3], s4  ; 4-byte Folded Spill
	s_nop 0
	buffer_store_dword v3, off, s[0:3], s4 offset:4 ; 4-byte Folded Spill
	buffer_load_dword v5, off, s[0:3], 0 offset:648
	s_mov_b32 s4, 0x40c00
	s_waitcnt vmcnt(0)
	buffer_store_dword v4, off, s[0:3], s4  ; 4-byte Folded Spill
	s_nop 0
	buffer_store_dword v5, off, s[0:3], s4 offset:4 ; 4-byte Folded Spill
	;; [unrolled: 6-line block ×3, first 2 shown]
	buffer_load_dword v0, off, s[0:3], 0 offset:676
	s_mov_b32 s4, 0x40e00
	s_waitcnt vmcnt(0)
	buffer_store_dword v0, off, s[0:3], s4  ; 4-byte Folded Spill
	buffer_load_dword v0, off, s[0:3], 0 offset:680
	s_nop 0
	buffer_load_dword v2, off, s[0:3], 0 offset:664
	buffer_load_dword v1, off, s[0:3], 0 offset:708
	;; [unrolled: 1-line block ×3, first 2 shown]
	s_mov_b32 s4, 0x41300
	s_waitcnt vmcnt(1)
	buffer_store_dword v1, off, s[0:3], s4  ; 4-byte Folded Spill
	s_mov_b32 s4, 0x41100
	s_waitcnt vmcnt(1)
	buffer_store_dword v2, off, s[0:3], s4  ; 4-byte Folded Spill
	s_nop 0
	buffer_store_dword v3, off, s[0:3], s4 offset:4 ; 4-byte Folded Spill
	buffer_load_dword v2, off, s[0:3], 0 offset:692
	s_nop 0
	buffer_load_dword v4, off, s[0:3], 0 offset:696
	buffer_load_dword v3, off, s[0:3], 0 offset:740
	s_mov_b32 s4, 0x41400
	s_waitcnt vmcnt(0)
	buffer_store_dword v2, off, s[0:3], s4  ; 4-byte Folded Spill
	s_nop 0
	buffer_store_dword v3, off, s[0:3], s4 offset:4 ; 4-byte Folded Spill
	buffer_load_dword v5, off, s[0:3], 0 offset:744
	s_mov_b32 s4, 0x41600
	s_waitcnt vmcnt(0)
	buffer_store_dword v4, off, s[0:3], s4  ; 4-byte Folded Spill
	s_nop 0
	buffer_store_dword v5, off, s[0:3], s4 offset:4 ; 4-byte Folded Spill
	buffer_load_dword v1, off, s[0:3], 0 offset:728
	s_mov_b32 s4, 0x40f00
	s_waitcnt vmcnt(0)
	buffer_store_dword v0, off, s[0:3], s4  ; 4-byte Folded Spill
	s_nop 0
	buffer_store_dword v1, off, s[0:3], s4 offset:4 ; 4-byte Folded Spill
	buffer_load_dword v0, off, s[0:3], 0 offset:772
	s_mov_b32 s4, 0x41800
	s_waitcnt vmcnt(0)
	buffer_store_dword v0, off, s[0:3], s4  ; 4-byte Folded Spill
	buffer_load_dword v0, off, s[0:3], 0 offset:776
	s_nop 0
	buffer_load_dword v2, off, s[0:3], 0 offset:760
	buffer_load_dword v1, off, s[0:3], 0 offset:812
	buffer_load_dword v3, off, s[0:3], 0 offset:808
	s_mov_b32 s4, 0x41d00
	s_waitcnt vmcnt(1)
	buffer_store_dword v1, off, s[0:3], s4  ; 4-byte Folded Spill
	s_mov_b32 s4, 0x41b00
	s_waitcnt vmcnt(1)
	buffer_store_dword v2, off, s[0:3], s4  ; 4-byte Folded Spill
	s_nop 0
	buffer_store_dword v3, off, s[0:3], s4 offset:4 ; 4-byte Folded Spill
	buffer_load_dword v1, off, s[0:3], 0 offset:804
	s_mov_b32 s4, 0x41e00
	s_waitcnt vmcnt(0)
	buffer_store_dword v1, off, s[0:3], s4  ; 4-byte Folded Spill
	buffer_load_dword v2, off, s[0:3], 0 offset:788
	buffer_load_dword v4, off, s[0:3], 0 offset:792
	buffer_load_dword v3, off, s[0:3], 0 offset:836
	s_mov_b32 s4, 0x41f00
	s_waitcnt vmcnt(0)
	buffer_store_dword v2, off, s[0:3], s4  ; 4-byte Folded Spill
	s_nop 0
	buffer_store_dword v3, off, s[0:3], s4 offset:4 ; 4-byte Folded Spill
	buffer_load_dword v5, off, s[0:3], 0 offset:840
	s_mov_b32 s4, 0x42100
	s_waitcnt vmcnt(0)
	buffer_store_dword v4, off, s[0:3], s4  ; 4-byte Folded Spill
	s_nop 0
	buffer_store_dword v5, off, s[0:3], s4 offset:4 ; 4-byte Folded Spill
	buffer_load_dword v1, off, s[0:3], 0 offset:824
	s_mov_b32 s4, 0x41900
	s_waitcnt vmcnt(0)
	buffer_store_dword v0, off, s[0:3], s4  ; 4-byte Folded Spill
	s_nop 0
	buffer_store_dword v1, off, s[0:3], s4 offset:4 ; 4-byte Folded Spill
	buffer_load_dword v0, off, s[0:3], 0 offset:868
	s_mov_b32 s4, 0x42300
	s_waitcnt vmcnt(0)
	buffer_store_dword v0, off, s[0:3], s4  ; 4-byte Folded Spill
	buffer_load_dword v0, off, s[0:3], 0 offset:872
	s_nop 0
	buffer_load_dword v2, off, s[0:3], 0 offset:856
	buffer_load_dword v1, off, s[0:3], 0 offset:908
	buffer_load_dword v3, off, s[0:3], 0 offset:904
	s_mov_b32 s4, 0x42800
	s_waitcnt vmcnt(1)
	buffer_store_dword v1, off, s[0:3], s4  ; 4-byte Folded Spill
	s_mov_b32 s4, 0x42600
	s_waitcnt vmcnt(1)
	buffer_store_dword v2, off, s[0:3], s4  ; 4-byte Folded Spill
	s_nop 0
	buffer_store_dword v3, off, s[0:3], s4 offset:4 ; 4-byte Folded Spill
	buffer_load_dword v1, off, s[0:3], 0 offset:900
	s_mov_b32 s4, 0x42900
	s_waitcnt vmcnt(0)
	buffer_store_dword v1, off, s[0:3], s4  ; 4-byte Folded Spill
	buffer_load_dword v2, off, s[0:3], 0 offset:884
	buffer_load_dword v4, off, s[0:3], 0 offset:888
	buffer_load_dword v3, off, s[0:3], 0 offset:932
	s_mov_b32 s4, 0x42a00
	s_waitcnt vmcnt(0)
	buffer_store_dword v2, off, s[0:3], s4  ; 4-byte Folded Spill
	s_nop 0
	buffer_store_dword v3, off, s[0:3], s4 offset:4 ; 4-byte Folded Spill
	buffer_load_dword v5, off, s[0:3], 0 offset:936
	s_mov_b32 s4, 0x42c00
	s_waitcnt vmcnt(0)
	buffer_store_dword v4, off, s[0:3], s4  ; 4-byte Folded Spill
	s_nop 0
	buffer_store_dword v5, off, s[0:3], s4 offset:4 ; 4-byte Folded Spill
	buffer_load_dword v1, off, s[0:3], 0 offset:920
	s_mov_b32 s4, 0x42400
	s_waitcnt vmcnt(0)
	buffer_store_dword v0, off, s[0:3], s4  ; 4-byte Folded Spill
	s_nop 0
	buffer_store_dword v1, off, s[0:3], s4 offset:4 ; 4-byte Folded Spill
	buffer_load_dword v0, off, s[0:3], 0 offset:964
	s_mov_b32 s4, 0x42e00
	s_waitcnt vmcnt(0)
	buffer_store_dword v0, off, s[0:3], s4  ; 4-byte Folded Spill
	buffer_load_dword v0, off, s[0:3], 0 offset:968
	s_nop 0
	buffer_load_dword v2, off, s[0:3], 0 offset:952
	buffer_load_dword v1, off, s[0:3], 0 offset:1004
	buffer_load_dword v3, off, s[0:3], 0 offset:1000
	s_mov_b32 s4, 0x43300
	s_waitcnt vmcnt(1)
	buffer_store_dword v1, off, s[0:3], s4  ; 4-byte Folded Spill
	s_mov_b32 s4, 0x43100
	s_waitcnt vmcnt(1)
	buffer_store_dword v2, off, s[0:3], s4  ; 4-byte Folded Spill
	s_nop 0
	buffer_store_dword v3, off, s[0:3], s4 offset:4 ; 4-byte Folded Spill
	buffer_load_dword v1, off, s[0:3], 0 offset:996
	s_mov_b32 s4, 0x43400
	s_waitcnt vmcnt(0)
	buffer_store_dword v1, off, s[0:3], s4  ; 4-byte Folded Spill
	buffer_load_dword v2, off, s[0:3], 0 offset:980
	buffer_load_dword v4, off, s[0:3], 0 offset:984
	buffer_load_dword v3, off, s[0:3], 0 offset:1028
	s_mov_b32 s4, 0x43500
	s_waitcnt vmcnt(0)
	buffer_store_dword v2, off, s[0:3], s4  ; 4-byte Folded Spill
	s_nop 0
	buffer_store_dword v3, off, s[0:3], s4 offset:4 ; 4-byte Folded Spill
	buffer_load_dword v5, off, s[0:3], 0 offset:1032
	s_mov_b32 s4, 0x43700
	s_waitcnt vmcnt(0)
	buffer_store_dword v4, off, s[0:3], s4  ; 4-byte Folded Spill
	s_nop 0
	buffer_store_dword v5, off, s[0:3], s4 offset:4 ; 4-byte Folded Spill
	buffer_load_dword v1, off, s[0:3], 0 offset:1016
	s_mov_b32 s4, 0x42f00
	s_waitcnt vmcnt(0)
	buffer_store_dword v0, off, s[0:3], s4  ; 4-byte Folded Spill
	s_nop 0
	buffer_store_dword v1, off, s[0:3], s4 offset:4 ; 4-byte Folded Spill
	buffer_load_dword v0, off, s[0:3], 0 offset:1060
	s_mov_b32 s4, 0x43900
	s_waitcnt vmcnt(0)
	buffer_store_dword v0, off, s[0:3], s4  ; 4-byte Folded Spill
	buffer_load_dword v0, off, s[0:3], 0 offset:1064
	s_nop 0
	buffer_load_dword v2, off, s[0:3], 0 offset:1048
	buffer_load_dword v1, off, s[0:3], 0 offset:1100
	buffer_load_dword v3, off, s[0:3], 0 offset:1096
	s_mov_b32 s4, 0x43e00
	s_waitcnt vmcnt(1)
	buffer_store_dword v1, off, s[0:3], s4  ; 4-byte Folded Spill
	s_mov_b32 s4, 0x43c00
	s_waitcnt vmcnt(1)
	buffer_store_dword v2, off, s[0:3], s4  ; 4-byte Folded Spill
	s_nop 0
	buffer_store_dword v3, off, s[0:3], s4 offset:4 ; 4-byte Folded Spill
	buffer_load_dword v1, off, s[0:3], 0 offset:1092
	s_mov_b32 s4, 0x43f00
	s_waitcnt vmcnt(0)
	buffer_store_dword v1, off, s[0:3], s4  ; 4-byte Folded Spill
	buffer_load_dword v2, off, s[0:3], 0 offset:1076
	buffer_load_dword v4, off, s[0:3], 0 offset:1080
	buffer_load_dword v3, off, s[0:3], 0 offset:1124
	s_mov_b32 s4, 0x44000
	s_waitcnt vmcnt(0)
	buffer_store_dword v2, off, s[0:3], s4  ; 4-byte Folded Spill
	s_nop 0
	buffer_store_dword v3, off, s[0:3], s4 offset:4 ; 4-byte Folded Spill
	buffer_load_dword v5, off, s[0:3], 0 offset:1128
	s_mov_b32 s4, 0x44200
	s_waitcnt vmcnt(0)
	buffer_store_dword v4, off, s[0:3], s4  ; 4-byte Folded Spill
	s_nop 0
	buffer_store_dword v5, off, s[0:3], s4 offset:4 ; 4-byte Folded Spill
	buffer_load_dword v1, off, s[0:3], 0 offset:1112
	s_mov_b32 s4, 0x43a00
	s_waitcnt vmcnt(0)
	buffer_store_dword v0, off, s[0:3], s4  ; 4-byte Folded Spill
	s_nop 0
	buffer_store_dword v1, off, s[0:3], s4 offset:4 ; 4-byte Folded Spill
	buffer_load_dword v0, off, s[0:3], 0 offset:1156
	s_mov_b32 s4, 0x44400
	s_waitcnt vmcnt(0)
	buffer_store_dword v0, off, s[0:3], s4  ; 4-byte Folded Spill
	buffer_load_dword v0, off, s[0:3], 0 offset:1160
	s_nop 0
	buffer_load_dword v2, off, s[0:3], 0 offset:1144
	buffer_load_dword v1, off, s[0:3], 0 offset:1196
	buffer_load_dword v3, off, s[0:3], 0 offset:1192
	s_mov_b32 s4, 0x44900
	s_waitcnt vmcnt(1)
	buffer_store_dword v1, off, s[0:3], s4  ; 4-byte Folded Spill
	s_mov_b32 s4, 0x44700
	s_waitcnt vmcnt(1)
	buffer_store_dword v2, off, s[0:3], s4  ; 4-byte Folded Spill
	s_nop 0
	buffer_store_dword v3, off, s[0:3], s4 offset:4 ; 4-byte Folded Spill
	buffer_load_dword v1, off, s[0:3], 0 offset:1188
	s_mov_b32 s4, 0x44a00
	s_waitcnt vmcnt(0)
	buffer_store_dword v1, off, s[0:3], s4  ; 4-byte Folded Spill
	buffer_load_dword v2, off, s[0:3], 0 offset:1172
	buffer_load_dword v4, off, s[0:3], 0 offset:1176
	buffer_load_dword v3, off, s[0:3], 0 offset:1220
	s_mov_b32 s4, 0x44b00
	s_waitcnt vmcnt(0)
	buffer_store_dword v2, off, s[0:3], s4  ; 4-byte Folded Spill
	s_nop 0
	buffer_store_dword v3, off, s[0:3], s4 offset:4 ; 4-byte Folded Spill
	buffer_load_dword v5, off, s[0:3], 0 offset:1224
	s_mov_b32 s4, 0x44d00
	s_waitcnt vmcnt(0)
	buffer_store_dword v4, off, s[0:3], s4  ; 4-byte Folded Spill
	s_nop 0
	buffer_store_dword v5, off, s[0:3], s4 offset:4 ; 4-byte Folded Spill
	buffer_load_dword v1, off, s[0:3], 0 offset:1208
	s_mov_b32 s4, 0x44500
	s_waitcnt vmcnt(0)
	buffer_store_dword v0, off, s[0:3], s4  ; 4-byte Folded Spill
	s_nop 0
	buffer_store_dword v1, off, s[0:3], s4 offset:4 ; 4-byte Folded Spill
	buffer_load_dword v0, off, s[0:3], 0 offset:1252
	s_mov_b32 s4, 0x44f00
	s_waitcnt vmcnt(0)
	buffer_store_dword v0, off, s[0:3], s4  ; 4-byte Folded Spill
	buffer_load_dword v0, off, s[0:3], 0 offset:1256
	s_nop 0
	buffer_load_dword v2, off, s[0:3], 0 offset:1240
	buffer_load_dword v1, off, s[0:3], 0 offset:1292
	buffer_load_dword v3, off, s[0:3], 0 offset:1288
	s_mov_b32 s4, 0x45400
	s_waitcnt vmcnt(1)
	buffer_store_dword v1, off, s[0:3], s4  ; 4-byte Folded Spill
	s_mov_b32 s4, 0x45200
	s_waitcnt vmcnt(1)
	buffer_store_dword v2, off, s[0:3], s4  ; 4-byte Folded Spill
	s_nop 0
	buffer_store_dword v3, off, s[0:3], s4 offset:4 ; 4-byte Folded Spill
	buffer_load_dword v1, off, s[0:3], 0 offset:1284
	s_mov_b32 s4, 0x45500
	s_waitcnt vmcnt(0)
	buffer_store_dword v1, off, s[0:3], s4  ; 4-byte Folded Spill
	buffer_load_dword v2, off, s[0:3], 0 offset:1268
	buffer_load_dword v4, off, s[0:3], 0 offset:1272
	buffer_load_dword v3, off, s[0:3], 0 offset:1316
	s_mov_b32 s4, 0x45600
	s_waitcnt vmcnt(0)
	buffer_store_dword v2, off, s[0:3], s4  ; 4-byte Folded Spill
	s_nop 0
	buffer_store_dword v3, off, s[0:3], s4 offset:4 ; 4-byte Folded Spill
	buffer_load_dword v5, off, s[0:3], 0 offset:1320
	s_mov_b32 s4, 0x45800
	s_waitcnt vmcnt(0)
	buffer_store_dword v4, off, s[0:3], s4  ; 4-byte Folded Spill
	s_nop 0
	buffer_store_dword v5, off, s[0:3], s4 offset:4 ; 4-byte Folded Spill
	;; [unrolled: 6-line block ×3, first 2 shown]
	buffer_load_dword v0, off, s[0:3], 0 offset:1348
	s_mov_b32 s4, 0x45a00
	s_waitcnt vmcnt(0)
	buffer_store_dword v0, off, s[0:3], s4  ; 4-byte Folded Spill
	buffer_load_dword v0, off, s[0:3], 0 offset:1352
	s_nop 0
	buffer_load_dword v2, off, s[0:3], 0 offset:1336
	buffer_load_dword v4, off, s[0:3], 0 offset:1364
	buffer_load_dword v6, off, s[0:3], 0 offset:1368
	buffer_load_dword v5, off, s[0:3], 0 offset:1412
	s_mov_b32 s4, 0x45f00
	s_waitcnt vmcnt(0)
	buffer_store_dword v4, off, s[0:3], s4  ; 4-byte Folded Spill
	s_nop 0
	buffer_store_dword v5, off, s[0:3], s4 offset:4 ; 4-byte Folded Spill
	buffer_load_dword v7, off, s[0:3], 0 offset:1416
	s_mov_b32 s4, 0x46100
	s_waitcnt vmcnt(0)
	buffer_store_dword v6, off, s[0:3], s4  ; 4-byte Folded Spill
	s_nop 0
	buffer_store_dword v7, off, s[0:3], s4 offset:4 ; 4-byte Folded Spill
	buffer_load_dword v1, off, s[0:3], 0 offset:1400
	;; [unrolled: 6-line block ×3, first 2 shown]
	s_nop 0
	buffer_load_dword v3, off, s[0:3], 0 offset:1384
	s_mov_b32 s4, 0x46300
	s_waitcnt vmcnt(1)
	buffer_store_dword v0, off, s[0:3], s4  ; 4-byte Folded Spill
	s_mov_b32 s4, 0x45d00
	s_waitcnt vmcnt(1)
	buffer_store_dword v2, off, s[0:3], s4  ; 4-byte Folded Spill
	s_nop 0
	buffer_store_dword v3, off, s[0:3], s4 offset:4 ; 4-byte Folded Spill
	buffer_load_dword v0, off, s[0:3], 0 offset:1380
	s_mov_b32 s4, 0x46400
	s_waitcnt vmcnt(0)
	buffer_store_dword v0, off, s[0:3], s4  ; 4-byte Folded Spill
	buffer_load_dword v0, off, s[0:3], 0 offset:364
	s_mov_b32 s4, 0x46500
	s_waitcnt vmcnt(0)
	buffer_store_dword v0, off, s[0:3], s4  ; 4-byte Folded Spill
	;; [unrolled: 4-line block ×172, first 2 shown]
	buffer_load_dword v0, off, s[0:3], 0 offset:1448
	s_waitcnt vmcnt(0)
	buffer_store_dword v0, off, s[0:3], 0 offset:3968 ; 4-byte Folded Spill
	s_nop 0
	buffer_store_dword v1, off, s[0:3], 0 offset:3972 ; 4-byte Folded Spill
	buffer_load_dword v0, off, s[0:3], 0 offset:1432
	s_waitcnt vmcnt(0)
	buffer_store_dword v0, off, s[0:3], 0 offset:3976 ; 4-byte Folded Spill
	s_nop 0
	buffer_store_dword v1, off, s[0:3], 0 offset:3980 ; 4-byte Folded Spill
	;; [unrolled: 5-line block ×4, first 2 shown]
.LBB6_27:                               ; =>This Loop Header: Depth=1
                                        ;     Child Loop BB6_28 Depth 2
	s_lshl_b64 s[4:5], s[28:29], 4
	s_add_u32 s4, s38, s4
	s_addc_u32 s5, s39, s5
	buffer_load_dword v5, off, s[0:3], 0 offset:1520
	buffer_load_dword v8, off, s[0:3], 0 offset:1524
	;; [unrolled: 1-line block ×5, first 2 shown]
	global_load_dwordx4 v[0:3], v20, s[4:5]
	s_mov_b32 s4, 0x4c400
	s_mov_b32 s44, s33
	s_mov_b64 s[34:35], s[22:23]
	s_waitcnt vmcnt(0)
	v_fmac_f32_e32 v6, v0, v5
	buffer_load_dword v7, off, s[0:3], 0 offset:1580
	buffer_load_dword v11, off, s[0:3], 0 offset:1584
	buffer_load_dword v12, off, s[0:3], 0 offset:1588
	buffer_load_dword v13, off, s[0:3], 0 offset:1592
	buffer_load_dword v15, off, s[0:3], 0 offset:1596
	buffer_load_dword v5, off, s[0:3], 0 offset:1576
	buffer_load_dword v10, off, s[0:3], 0 offset:1568
	buffer_load_dword v14, off, s[0:3], 0 offset:1572
	v_fmac_f32_e32 v6, v1, v8
	s_waitcnt vmcnt(3)
	v_fmac_f32_e32 v15, v0, v11
	v_fmac_f32_e32 v15, v1, v12
	s_waitcnt vmcnt(1)
	v_fmac_f32_e32 v7, v0, v10
	s_waitcnt vmcnt(0)
	v_fmac_f32_e32 v7, v1, v14
	v_pk_fma_f32 v[4:5], v[2:3], v[4:5], v[6:7] op_sel_hi:[0,1,1]
	buffer_store_dword v4, off, s[0:3], 0 offset:3344 ; 4-byte Folded Spill
	s_nop 0
	buffer_store_dword v5, off, s[0:3], 0 offset:3348 ; 4-byte Folded Spill
	buffer_load_dword v6, off, s[0:3], 0 offset:1556
	s_nop 0
	buffer_load_dword v4, off, s[0:3], 0 offset:1560
	buffer_load_dword v10, off, s[0:3], 0 offset:1564
	buffer_load_dword v14, off, s[0:3], 0 offset:1548
	buffer_load_dword v5, off, s[0:3], 0 offset:1536
	buffer_load_dword v7, off, s[0:3], 0 offset:1540
	buffer_load_dword v12, off, s[0:3], 0 offset:1544
	s_waitcnt vmcnt(2)
	v_fmac_f32_e32 v14, v0, v5
	s_waitcnt vmcnt(1)
	v_fmac_f32_e32 v14, v1, v7
	s_waitcnt vmcnt(0)
	v_pk_fma_f32 v[12:13], v[2:3], v[12:13], v[14:15] op_sel_hi:[0,1,1]
	buffer_store_dword v12, off, s[0:3], 0 offset:3352 ; 4-byte Folded Spill
	s_nop 0
	buffer_store_dword v13, off, s[0:3], 0 offset:3356 ; 4-byte Folded Spill
	buffer_load_dword v5, off, s[0:3], 0 offset:1620
	s_nop 0
	buffer_load_dword v12, off, s[0:3], 0 offset:1624
	buffer_load_dword v11, off, s[0:3], 0 offset:1612
	buffer_load_dword v7, off, s[0:3], 0 offset:1616
	buffer_load_dword v14, off, s[0:3], 0 offset:1628
	s_waitcnt vmcnt(0)
	v_fmac_f32_e32 v14, v0, v7
	buffer_load_dword v15, off, s[0:3], 0 offset:1676
	buffer_load_dword v7, off, s[0:3], 0 offset:1680
	buffer_load_dword v8, off, s[0:3], 0 offset:1684
	buffer_load_dword v19, off, s[0:3], 0 offset:1688
	buffer_load_dword v23, off, s[0:3], 0 offset:1692
	buffer_load_dword v13, off, s[0:3], 0 offset:1672
	buffer_load_dword v16, off, s[0:3], 0 offset:1664
	buffer_load_dword v17, off, s[0:3], 0 offset:1668
	v_fmac_f32_e32 v14, v1, v5
	s_waitcnt vmcnt(3)
	v_fmac_f32_e32 v23, v0, v7
	v_fmac_f32_e32 v23, v1, v8
	s_waitcnt vmcnt(1)
	v_fmac_f32_e32 v15, v0, v16
	s_waitcnt vmcnt(0)
	v_fmac_f32_e32 v15, v1, v17
	v_pk_fma_f32 v[12:13], v[2:3], v[12:13], v[14:15] op_sel_hi:[0,1,1]
	buffer_store_dword v12, off, s[0:3], 0 offset:3360 ; 4-byte Folded Spill
	s_nop 0
	buffer_store_dword v13, off, s[0:3], 0 offset:3364 ; 4-byte Folded Spill
	buffer_load_dword v14, off, s[0:3], 0 offset:1652
	s_nop 0
	buffer_load_dword v12, off, s[0:3], 0 offset:1656
	buffer_load_dword v16, off, s[0:3], 0 offset:1660
	buffer_load_dword v22, off, s[0:3], 0 offset:1644
	buffer_load_dword v5, off, s[0:3], 0 offset:1632
	buffer_load_dword v13, off, s[0:3], 0 offset:1636
	buffer_load_dword v18, off, s[0:3], 0 offset:1640
	s_waitcnt vmcnt(2)
	v_fmac_f32_e32 v22, v0, v5
	s_waitcnt vmcnt(1)
	v_fmac_f32_e32 v22, v1, v13
	s_waitcnt vmcnt(0)
	v_pk_fma_f32 v[18:19], v[2:3], v[18:19], v[22:23] op_sel_hi:[0,1,1]
	buffer_store_dword v18, off, s[0:3], 0 offset:3368 ; 4-byte Folded Spill
	s_nop 0
	buffer_store_dword v19, off, s[0:3], 0 offset:3372 ; 4-byte Folded Spill
	buffer_load_dword v5, off, s[0:3], 0 offset:1716
	s_nop 0
	buffer_load_dword v18, off, s[0:3], 0 offset:1720
	buffer_load_dword v17, off, s[0:3], 0 offset:1708
	buffer_load_dword v7, off, s[0:3], 0 offset:1712
	buffer_load_dword v22, off, s[0:3], 0 offset:1724
	;; [unrolled: 45-line block ×3, first 2 shown]
	s_waitcnt vmcnt(0)
	v_fmac_f32_e32 v28, v0, v7
	v_fmac_f32_e32 v28, v1, v5
	buffer_load_dword v29, off, s[0:3], 0 offset:1868
	buffer_load_dword v5, off, s[0:3], 0 offset:1872
	buffer_load_dword v7, off, s[0:3], 0 offset:1876
	buffer_load_dword v31, off, s[0:3], 0 offset:1880
	buffer_load_dword v33, off, s[0:3], 0 offset:1884
	buffer_load_dword v27, off, s[0:3], 0 offset:1864
	buffer_load_dword v8, off, s[0:3], 0 offset:1856
	buffer_load_dword v13, off, s[0:3], 0 offset:1860
	s_waitcnt vmcnt(3)
	v_fmac_f32_e32 v33, v0, v5
	v_fmac_f32_e32 v33, v1, v7
	s_waitcnt vmcnt(1)
	v_fmac_f32_e32 v29, v0, v8
	s_waitcnt vmcnt(0)
	v_fmac_f32_e32 v29, v1, v13
	v_pk_fma_f32 v[26:27], v[2:3], v[26:27], v[28:29] op_sel_hi:[0,1,1]
	buffer_store_dword v26, off, s[0:3], 0 offset:3392 ; 4-byte Folded Spill
	s_nop 0
	buffer_store_dword v27, off, s[0:3], 0 offset:3396 ; 4-byte Folded Spill
	buffer_load_dword v26, off, s[0:3], 0 offset:1844
	s_nop 0
	buffer_load_dword v122, off, s[0:3], 0 offset:1848
	buffer_load_dword v28, off, s[0:3], 0 offset:1852
	buffer_load_dword v32, off, s[0:3], 0 offset:1836
	buffer_load_dword v8, off, s[0:3], 0 offset:1824
	buffer_load_dword v13, off, s[0:3], 0 offset:1828
	buffer_load_dword v30, off, s[0:3], 0 offset:1832
	s_waitcnt vmcnt(2)
	v_fmac_f32_e32 v32, v0, v8
	s_waitcnt vmcnt(1)
	v_fmac_f32_e32 v32, v1, v13
	s_waitcnt vmcnt(0)
	v_pk_fma_f32 v[30:31], v[2:3], v[30:31], v[32:33] op_sel_hi:[0,1,1]
	buffer_store_dword v30, off, s[0:3], 0 offset:3400 ; 4-byte Folded Spill
	s_nop 0
	buffer_store_dword v31, off, s[0:3], 0 offset:3404 ; 4-byte Folded Spill
	buffer_load_dword v5, off, s[0:3], 0 offset:1908
	s_nop 0
	buffer_load_dword v30, off, s[0:3], 0 offset:1912
	buffer_load_dword v29, off, s[0:3], 0 offset:1900
	buffer_load_dword v7, off, s[0:3], 0 offset:1904
	buffer_load_dword v32, off, s[0:3], 0 offset:1916
	s_waitcnt vmcnt(0)
	v_fmac_f32_e32 v32, v0, v7
	v_fmac_f32_e32 v32, v1, v5
	buffer_load_dword v33, off, s[0:3], 0 offset:1964
	buffer_load_dword v5, off, s[0:3], 0 offset:1968
	buffer_load_dword v7, off, s[0:3], 0 offset:1972
	buffer_load_dword v37, off, s[0:3], 0 offset:1976
	buffer_load_dword v39, off, s[0:3], 0 offset:1980
	buffer_load_dword v31, off, s[0:3], 0 offset:1960
	buffer_load_dword v8, off, s[0:3], 0 offset:1952
	buffer_load_dword v13, off, s[0:3], 0 offset:1956
	s_waitcnt vmcnt(3)
	v_fmac_f32_e32 v39, v0, v5
	v_fmac_f32_e32 v39, v1, v7
	s_waitcnt vmcnt(1)
	v_fmac_f32_e32 v33, v0, v8
	s_waitcnt vmcnt(0)
	v_fmac_f32_e32 v33, v1, v13
	v_pk_fma_f32 v[30:31], v[2:3], v[30:31], v[32:33] op_sel_hi:[0,1,1]
	buffer_store_dword v30, off, s[0:3], 0 offset:3408 ; 4-byte Folded Spill
	s_nop 0
	buffer_store_dword v31, off, s[0:3], 0 offset:3412 ; 4-byte Folded Spill
	buffer_load_dword v32, off, s[0:3], 0 offset:1940
	s_nop 0
	buffer_load_dword v30, off, s[0:3], 0 offset:1944
	buffer_load_dword v34, off, s[0:3], 0 offset:1948
	buffer_load_dword v38, off, s[0:3], 0 offset:1932
	buffer_load_dword v8, off, s[0:3], 0 offset:1920
	buffer_load_dword v13, off, s[0:3], 0 offset:1924
	buffer_load_dword v36, off, s[0:3], 0 offset:1928
	s_waitcnt vmcnt(2)
	v_fmac_f32_e32 v38, v0, v8
	s_waitcnt vmcnt(1)
	v_fmac_f32_e32 v38, v1, v13
	s_waitcnt vmcnt(0)
	v_pk_fma_f32 v[36:37], v[2:3], v[36:37], v[38:39] op_sel_hi:[0,1,1]
	buffer_store_dword v36, off, s[0:3], 0 offset:3416 ; 4-byte Folded Spill
	s_nop 0
	buffer_store_dword v37, off, s[0:3], 0 offset:3420 ; 4-byte Folded Spill
	buffer_load_dword v5, off, s[0:3], 0 offset:2004
	s_nop 0
	buffer_load_dword v36, off, s[0:3], 0 offset:2008
	buffer_load_dword v35, off, s[0:3], 0 offset:1996
	buffer_load_dword v7, off, s[0:3], 0 offset:2000
	buffer_load_dword v38, off, s[0:3], 0 offset:2012
	;; [unrolled: 45-line block ×15, first 2 shown]
	s_waitcnt vmcnt(0)
	v_fmac_f32_e32 v116, v0, v7
	v_fmac_f32_e32 v116, v1, v5
	buffer_load_dword v5, off, s[0:3], 0 offset:3324
	buffer_load_dword v118, off, s[0:3], 0 offset:3312
	;; [unrolled: 1-line block ×7, first 2 shown]
	s_waitcnt vmcnt(1)
	v_fmac_f32_e32 v117, v0, v7
	s_waitcnt vmcnt(0)
	v_fmac_f32_e32 v117, v1, v8
	v_pk_fma_f32 v[114:115], v[2:3], v[114:115], v[116:117] op_sel_hi:[0,1,1]
	buffer_store_dword v114, off, s[0:3], 0 offset:3632 ; 4-byte Folded Spill
	s_nop 0
	buffer_store_dword v115, off, s[0:3], 0 offset:3636 ; 4-byte Folded Spill
	v_pk_mul_f32 v[114:115], v[0:1], v[118:119]
	v_add_f32_e32 v5, v5, v114
	v_add_f32_e32 v125, v5, v115
	buffer_load_dword v124, off, s[0:3], 0 offset:3276
	buffer_load_dword v5, off, s[0:3], 0 offset:3264
	;; [unrolled: 1-line block ×9, first 2 shown]
	s_waitcnt vmcnt(7)
	v_fmac_f32_e32 v124, v0, v5
	s_waitcnt vmcnt(6)
	v_fmac_f32_e32 v124, v1, v7
	;; [unrolled: 2-line block ×3, first 2 shown]
	s_waitcnt vmcnt(0)
	v_pk_fma_f32 v[124:125], v[2:3], v[126:127], v[124:125] op_sel_hi:[0,1,1]
	buffer_store_dword v124, off, s[0:3], 0 offset:3640 ; 4-byte Folded Spill
	s_nop 0
	buffer_store_dword v125, off, s[0:3], 0 offset:3644 ; 4-byte Folded Spill
	buffer_load_dword v5, off, s[0:3], 0 offset:1552
	s_waitcnt vmcnt(0)
	v_fmac_f32_e32 v10, v0, v5
	buffer_load_dword v5, off, s[0:3], 0 offset:1608
	buffer_load_dword v7, off, s[0:3], 0 offset:1600
	s_waitcnt vmcnt(0)
	v_fmac_f32_e32 v11, v0, v7
	buffer_load_dword v7, off, s[0:3], 0 offset:1604
	s_waitcnt vmcnt(0)
	v_pk_fma_f32 v[6:7], v[0:1], v[6:7], v[10:11] op_sel:[1,0,0]
	v_pk_fma_f32 v[4:5], v[2:3], v[4:5], v[6:7] op_sel_hi:[0,1,1]
	buffer_store_dword v4, off, s[0:3], 0 offset:3648 ; 4-byte Folded Spill
	s_nop 0
	buffer_store_dword v5, off, s[0:3], 0 offset:3652 ; 4-byte Folded Spill
	buffer_load_dword v4, off, s[0:3], 0 offset:1648
	s_waitcnt vmcnt(0)
	v_fmac_f32_e32 v16, v0, v4
	buffer_load_dword v13, off, s[0:3], 0 offset:1704
	buffer_load_dword v4, off, s[0:3], 0 offset:1696
	buffer_load_dword v15, off, s[0:3], 0 offset:1700
	s_waitcnt vmcnt(1)
	v_fmac_f32_e32 v17, v0, v4
	s_waitcnt vmcnt(0)
	v_pk_fma_f32 v[4:5], v[0:1], v[14:15], v[16:17] op_sel:[1,0,0]
	v_pk_fma_f32 v[4:5], v[2:3], v[12:13], v[4:5] op_sel_hi:[0,1,1]
	buffer_store_dword v4, off, s[0:3], 0 offset:3656 ; 4-byte Folded Spill
	s_nop 0
	buffer_store_dword v5, off, s[0:3], 0 offset:3660 ; 4-byte Folded Spill
	buffer_load_dword v4, off, s[0:3], 0 offset:1744
	s_waitcnt vmcnt(0)
	v_fmac_f32_e32 v22, v0, v4
	buffer_load_dword v19, off, s[0:3], 0 offset:1800
	buffer_load_dword v4, off, s[0:3], 0 offset:1792
	buffer_load_dword v121, off, s[0:3], 0 offset:1796
	s_waitcnt vmcnt(1)
	v_fmac_f32_e32 v23, v0, v4
	;; [unrolled: 14-line block ×17, first 2 shown]
	s_waitcnt vmcnt(0)
	v_pk_fma_f32 v[4:5], v[0:1], v[110:111], v[112:113] op_sel:[1,0,0]
	v_pk_fma_f32 v[4:5], v[2:3], v[108:109], v[4:5] op_sel_hi:[0,1,1]
	buffer_store_dword v4, off, s[0:3], 0 offset:3784 ; 4-byte Folded Spill
	s_nop 0
	buffer_store_dword v5, off, s[0:3], 0 offset:3788 ; 4-byte Folded Spill
	buffer_load_dword v119, off, s[0:3], 0 offset:3340
	buffer_load_dword v115, off, s[0:3], 0 offset:3336
	s_nop 0
	buffer_load_dword v4, off, s[0:3], 0 offset:3328
	buffer_load_dword v117, off, s[0:3], 0 offset:3332
	s_waitcnt vmcnt(1)
	v_fmac_f32_e32 v119, v0, v4
	s_waitcnt vmcnt(0)
	v_pk_fma_f32 v[4:5], v[0:1], v[116:117], v[118:119] op_sel:[1,0,0]
	v_pk_fma_f32 v[4:5], v[2:3], v[114:115], v[4:5] op_sel_hi:[0,1,1]
	buffer_store_dword v4, off, s[0:3], 0 offset:3792 ; 4-byte Folded Spill
	s_nop 0
	buffer_store_dword v5, off, s[0:3], 0 offset:3796 ; 4-byte Folded Spill
	buffer_load_dword v4, off, s[0:3], 0 offset:1472
	s_nop 0
	buffer_load_dword v7, off, s[0:3], 0 offset:1500
	buffer_load_dword v5, off, s[0:3], 0 offset:1492
	;; [unrolled: 1-line block ×4, first 2 shown]
	s_waitcnt vmcnt(1)
	v_fmac_f32_e32 v11, v0, v4
	buffer_load_dword v4, off, s[0:3], 0 offset:1488
	buffer_load_dword v84, off, s[0:3], 0 offset:3992 ; 4-byte Folded Reload
	buffer_load_dword v85, off, s[0:3], 0 offset:3996 ; 4-byte Folded Reload
	s_waitcnt vmcnt(3)
	v_fmac_f32_e32 v11, v1, v6
	s_waitcnt vmcnt(2)
	v_fmac_f32_e32 v7, v0, v4
	buffer_load_dword v85, off, s[0:3], 0 offset:1512
	buffer_load_dword v4, off, s[0:3], 0 offset:1504
	buffer_load_dword v46, off, s[0:3], 0 offset:3976 ; 4-byte Folded Reload
	buffer_load_dword v47, off, s[0:3], 0 offset:3980 ; 4-byte Folded Reload
	buffer_load_dword v47, off, s[0:3], 0 offset:1480
	buffer_load_dword v44, off, s[0:3], 0 offset:3968 ; 4-byte Folded Reload
	buffer_load_dword v45, off, s[0:3], 0 offset:3972 ; 4-byte Folded Reload
	;; [unrolled: 3-line block ×3, first 2 shown]
	v_fmac_f32_e32 v7, v1, v5
	buffer_load_dword v73, off, s[0:3], 0 offset:1508
	v_ashrrev_i32_e32 v5, 31, v3
	s_waitcnt vmcnt(9)
	v_fmac_f32_e32 v9, v0, v4
	v_mov_b32_e32 v4, v3
	buffer_load_dword v3, off, s[0:3], s4   ; 4-byte Folded Reload
	s_mov_b32 s4, 0x4c500
	buffer_load_dword v6, off, s[0:3], s4   ; 4-byte Folded Reload
	s_mov_b32 s4, 0x4c900
	s_waitcnt vmcnt(10)
	v_mov_b32_e32 v24, v46
	s_waitcnt vmcnt(0)
	v_fma_f32 v12, v0, v3, v6
	buffer_load_dword v3, off, s[0:3], s4   ; 4-byte Folded Reload
	s_mov_b32 s4, 0x4c600
	s_waitcnt vmcnt(0)
	v_fmac_f32_e32 v12, v1, v3
	buffer_load_dword v3, off, s[0:3], s4   ; 4-byte Folded Reload
	s_mov_b32 s4, 0x4c700
	buffer_load_dword v6, off, s[0:3], s4   ; 4-byte Folded Reload
	s_mov_b32 s4, 0x4c800
	s_waitcnt vmcnt(0)
	v_fma_f32 v14, v0, v3, v6
	buffer_load_dword v3, off, s[0:3], s4   ; 4-byte Folded Reload
	s_mov_b32 s4, 0x4cb00
	s_waitcnt vmcnt(0)
	v_fmac_f32_e32 v14, v1, v3
	buffer_load_dword v3, off, s[0:3], s4   ; 4-byte Folded Reload
	s_mov_b32 s4, 0x4cc00
	buffer_load_dword v6, off, s[0:3], s4   ; 4-byte Folded Reload
	s_mov_b32 s4, 0x4cd00
	s_waitcnt vmcnt(0)
	v_fma_f32 v13, v0, v3, v6
	buffer_load_dword v3, off, s[0:3], s4   ; 4-byte Folded Reload
	buffer_load_dword v16, off, s[0:3], 0 offset:4000 ; 4-byte Folded Reload
	buffer_load_dword v17, off, s[0:3], 0 offset:4004 ; 4-byte Folded Reload
	s_mov_b32 s4, 0x46700
	s_waitcnt vmcnt(2)
	v_fmac_f32_e32 v13, v1, v3
	s_waitcnt vmcnt(0)
	v_pk_fma_f32 v[12:13], v[2:3], v[16:17], v[12:13] op_sel_hi:[0,1,1]
	buffer_store_dword v12, off, s[0:3], 0 offset:3800 ; 4-byte Folded Spill
	s_nop 0
	buffer_store_dword v13, off, s[0:3], 0 offset:3804 ; 4-byte Folded Spill
	buffer_load_dword v3, off, s[0:3], s4   ; 4-byte Folded Reload
	s_mov_b32 s4, 0x4cf00
	buffer_load_dword v6, off, s[0:3], s4   ; 4-byte Folded Reload
	s_mov_b32 s4, 0x4d000
	s_waitcnt vmcnt(0)
	v_fma_f32 v15, v0, v6, v3
	buffer_load_dword v3, off, s[0:3], s4   ; 4-byte Folded Reload
	buffer_load_dword v12, off, s[0:3], 0 offset:4008 ; 4-byte Folded Reload
	buffer_load_dword v13, off, s[0:3], 0 offset:4012 ; 4-byte Folded Reload
	s_mov_b32 s4, 0x4ca00
	s_waitcnt vmcnt(2)
	v_fmac_f32_e32 v15, v1, v3
	s_waitcnt vmcnt(0)
	v_pk_fma_f32 v[12:13], v[2:3], v[12:13], v[14:15] op_sel_hi:[0,1,1]
	buffer_store_dword v12, off, s[0:3], 0 offset:3808 ; 4-byte Folded Spill
	s_nop 0
	buffer_store_dword v13, off, s[0:3], 0 offset:3812 ; 4-byte Folded Spill
	buffer_load_dword v3, off, s[0:3], s4   ; 4-byte Folded Reload
	s_mov_b32 s4, 0x4ce00
	buffer_load_dword v6, off, s[0:3], s4   ; 4-byte Folded Reload
	s_mov_b32 s4, 0x46500
	s_waitcnt vmcnt(0)
	v_fma_f32 v12, v0, v6, v3
	buffer_load_dword v3, off, s[0:3], s4   ; 4-byte Folded Reload
	s_mov_b32 s4, 0x46600
	buffer_load_dword v6, off, s[0:3], s4   ; 4-byte Folded Reload
	s_mov_b32 s4, 0x46a00
	s_waitcnt vmcnt(0)
	v_fma_f32 v13, v0, v6, v3
	;; [unrolled: 6-line block ×3, first 2 shown]
	buffer_load_dword v3, off, s[0:3], s4   ; 4-byte Folded Reload
	s_mov_b32 s4, 0x46800
	s_waitcnt vmcnt(0)
	v_fmac_f32_e32 v14, v1, v3
	buffer_load_dword v3, off, s[0:3], s4   ; 4-byte Folded Reload
	s_mov_b32 s4, 0x46900
	buffer_load_dword v6, off, s[0:3], s4   ; 4-byte Folded Reload
	s_mov_b32 s4, 0x46b00
	s_waitcnt vmcnt(0)
	v_fma_f32 v16, v0, v6, v3
	buffer_load_dword v3, off, s[0:3], 0 offset:4032 ; 4-byte Folded Reload
	s_waitcnt vmcnt(0)
	v_fmac_f32_e32 v16, v1, v3
	buffer_load_dword v3, off, s[0:3], s4   ; 4-byte Folded Reload
	s_mov_b32 s4, 0x46c00
	buffer_load_dword v6, off, s[0:3], s4   ; 4-byte Folded Reload
	s_mov_b32 s4, 0x47000
	s_waitcnt vmcnt(0)
	v_fma_f32 v15, v0, v6, v3
	buffer_load_dword v3, off, s[0:3], 0 offset:4052 ; 4-byte Folded Reload
	buffer_load_dword v18, off, s[0:3], 0 offset:4044 ; 4-byte Folded Reload
	;; [unrolled: 1-line block ×3, first 2 shown]
	s_waitcnt vmcnt(2)
	v_fmac_f32_e32 v15, v1, v3
	s_waitcnt vmcnt(0)
	v_pk_fma_f32 v[14:15], v[2:3], v[18:19], v[14:15] op_sel_hi:[0,1,1]
	buffer_store_dword v14, off, s[0:3], 0 offset:3816 ; 4-byte Folded Spill
	s_nop 0
	buffer_store_dword v15, off, s[0:3], 0 offset:3820 ; 4-byte Folded Spill
	buffer_load_dword v3, off, s[0:3], s4   ; 4-byte Folded Reload
	s_mov_b32 s4, 0x4d400
	buffer_load_dword v6, off, s[0:3], s4   ; 4-byte Folded Reload
	s_mov_b32 s4, 0x4d500
	s_waitcnt vmcnt(0)
	v_fma_f32 v17, v0, v6, v3
	buffer_load_dword v3, off, s[0:3], s4   ; 4-byte Folded Reload
	buffer_load_dword v14, off, s[0:3], 0 offset:4036 ; 4-byte Folded Reload
	buffer_load_dword v15, off, s[0:3], 0 offset:4040 ; 4-byte Folded Reload
	s_mov_b32 s4, 0x46d00
	s_waitcnt vmcnt(2)
	v_fmac_f32_e32 v17, v1, v3
	s_waitcnt vmcnt(0)
	v_pk_fma_f32 v[14:15], v[2:3], v[14:15], v[16:17] op_sel_hi:[0,1,1]
	buffer_store_dword v14, off, s[0:3], 0 offset:3824 ; 4-byte Folded Spill
	s_nop 0
	buffer_store_dword v15, off, s[0:3], 0 offset:3828 ; 4-byte Folded Spill
	buffer_load_dword v3, off, s[0:3], s4   ; 4-byte Folded Reload
	s_mov_b32 s4, 0x4d300
	buffer_load_dword v6, off, s[0:3], s4   ; 4-byte Folded Reload
	s_mov_b32 s4, 0x46e00
	s_waitcnt vmcnt(0)
	v_fma_f32 v14, v0, v6, v3
	buffer_load_dword v3, off, s[0:3], s4   ; 4-byte Folded Reload
	s_mov_b32 s4, 0x46f00
	buffer_load_dword v6, off, s[0:3], s4   ; 4-byte Folded Reload
	s_mov_b32 s4, 0x47300
	s_waitcnt vmcnt(0)
	v_fma_f32 v15, v0, v6, v3
	;; [unrolled: 6-line block ×3, first 2 shown]
	buffer_load_dword v3, off, s[0:3], s4   ; 4-byte Folded Reload
	s_mov_b32 s4, 0x47100
	s_waitcnt vmcnt(0)
	v_fmac_f32_e32 v16, v1, v3
	buffer_load_dword v3, off, s[0:3], s4   ; 4-byte Folded Reload
	s_mov_b32 s4, 0x47200
	buffer_load_dword v6, off, s[0:3], s4   ; 4-byte Folded Reload
	s_mov_b32 s4, 0x47400
	s_waitcnt vmcnt(0)
	v_fma_f32 v18, v0, v6, v3
	buffer_load_dword v3, off, s[0:3], 0 offset:4072 ; 4-byte Folded Reload
	s_waitcnt vmcnt(0)
	v_fmac_f32_e32 v18, v1, v3
	buffer_load_dword v3, off, s[0:3], s4   ; 4-byte Folded Reload
	s_mov_b32 s4, 0x47500
	buffer_load_dword v6, off, s[0:3], s4   ; 4-byte Folded Reload
	s_mov_b32 s4, 0x47900
	s_waitcnt vmcnt(0)
	v_fma_f32 v17, v0, v6, v3
	buffer_load_dword v3, off, s[0:3], 0 offset:4092 ; 4-byte Folded Reload
	buffer_load_dword v22, off, s[0:3], 0 offset:4084 ; 4-byte Folded Reload
	;; [unrolled: 1-line block ×3, first 2 shown]
	s_waitcnt vmcnt(2)
	v_fmac_f32_e32 v17, v1, v3
	s_waitcnt vmcnt(0)
	v_pk_fma_f32 v[16:17], v[2:3], v[22:23], v[16:17] op_sel_hi:[0,1,1]
	buffer_store_dword v16, off, s[0:3], 0 offset:3832 ; 4-byte Folded Spill
	s_nop 0
	buffer_store_dword v17, off, s[0:3], 0 offset:3836 ; 4-byte Folded Spill
	buffer_load_dword v3, off, s[0:3], s4   ; 4-byte Folded Reload
	s_mov_b32 s4, 0x4d900
	buffer_load_dword v6, off, s[0:3], s4   ; 4-byte Folded Reload
	s_mov_b32 s4, 0x4da00
	s_waitcnt vmcnt(0)
	v_fma_f32 v19, v0, v6, v3
	buffer_load_dword v3, off, s[0:3], s4   ; 4-byte Folded Reload
	buffer_load_dword v16, off, s[0:3], 0 offset:4076 ; 4-byte Folded Reload
	buffer_load_dword v17, off, s[0:3], 0 offset:4080 ; 4-byte Folded Reload
	s_mov_b32 s4, 0x47600
	s_waitcnt vmcnt(2)
	v_fmac_f32_e32 v19, v1, v3
	s_waitcnt vmcnt(0)
	v_pk_fma_f32 v[16:17], v[2:3], v[16:17], v[18:19] op_sel_hi:[0,1,1]
	buffer_store_dword v16, off, s[0:3], 0 offset:3840 ; 4-byte Folded Spill
	s_nop 0
	buffer_store_dword v17, off, s[0:3], 0 offset:3844 ; 4-byte Folded Spill
	buffer_load_dword v3, off, s[0:3], s4   ; 4-byte Folded Reload
	s_mov_b32 s4, 0x4d800
	buffer_load_dword v6, off, s[0:3], s4   ; 4-byte Folded Reload
	s_mov_b32 s4, 0x47700
	s_waitcnt vmcnt(0)
	v_fma_f32 v16, v0, v6, v3
	buffer_load_dword v3, off, s[0:3], s4   ; 4-byte Folded Reload
	s_mov_b32 s4, 0x47800
	buffer_load_dword v6, off, s[0:3], s4   ; 4-byte Folded Reload
	s_mov_b32 s4, 0x47c00
	s_waitcnt vmcnt(0)
	v_fma_f32 v17, v0, v6, v3
	;; [unrolled: 6-line block ×3, first 2 shown]
	buffer_load_dword v3, off, s[0:3], s4   ; 4-byte Folded Reload
	s_mov_b32 s4, 0x47a00
	s_waitcnt vmcnt(0)
	v_fmac_f32_e32 v18, v1, v3
	buffer_load_dword v3, off, s[0:3], s4   ; 4-byte Folded Reload
	s_mov_b32 s4, 0x47b00
	buffer_load_dword v6, off, s[0:3], s4   ; 4-byte Folded Reload
	s_mov_b32 s4, 0x40400
	s_waitcnt vmcnt(0)
	v_fma_f32 v22, v0, v6, v3
	buffer_load_dword v3, off, s[0:3], s4   ; 4-byte Folded Reload
	s_mov_b32 s4, 0x47d00
	s_waitcnt vmcnt(0)
	v_fmac_f32_e32 v22, v1, v3
	buffer_load_dword v3, off, s[0:3], s4   ; 4-byte Folded Reload
	s_mov_b32 s4, 0x47e00
	buffer_load_dword v6, off, s[0:3], s4   ; 4-byte Folded Reload
	s_mov_b32 s4, 0x40900
	s_waitcnt vmcnt(0)
	v_fma_f32 v19, v0, v6, v3
	buffer_load_dword v3, off, s[0:3], s4   ; 4-byte Folded Reload
	s_mov_b32 s4, 0x40700
	buffer_load_dword v26, off, s[0:3], s4  ; 4-byte Folded Reload
	buffer_load_dword v27, off, s[0:3], s4 offset:4 ; 4-byte Folded Reload
	s_mov_b32 s4, 0x48200
	s_waitcnt vmcnt(2)
	v_fmac_f32_e32 v19, v1, v3
	s_waitcnt vmcnt(0)
	v_pk_fma_f32 v[18:19], v[2:3], v[26:27], v[18:19] op_sel_hi:[0,1,1]
	buffer_store_dword v18, off, s[0:3], 0 offset:3848 ; 4-byte Folded Spill
	s_nop 0
	buffer_store_dword v19, off, s[0:3], 0 offset:3852 ; 4-byte Folded Spill
	buffer_load_dword v3, off, s[0:3], s4   ; 4-byte Folded Reload
	s_mov_b32 s4, 0x4de00
	buffer_load_dword v6, off, s[0:3], s4   ; 4-byte Folded Reload
	s_mov_b32 s4, 0x4df00
	s_waitcnt vmcnt(0)
	v_fma_f32 v23, v0, v6, v3
	buffer_load_dword v3, off, s[0:3], s4   ; 4-byte Folded Reload
	s_mov_b32 s4, 0x40500
	buffer_load_dword v18, off, s[0:3], s4  ; 4-byte Folded Reload
	buffer_load_dword v19, off, s[0:3], s4 offset:4 ; 4-byte Folded Reload
	s_mov_b32 s4, 0x47f00
	s_waitcnt vmcnt(2)
	v_fmac_f32_e32 v23, v1, v3
	s_waitcnt vmcnt(0)
	v_pk_fma_f32 v[18:19], v[2:3], v[18:19], v[22:23] op_sel_hi:[0,1,1]
	buffer_store_dword v18, off, s[0:3], 0 offset:3856 ; 4-byte Folded Spill
	s_nop 0
	buffer_store_dword v19, off, s[0:3], 0 offset:3860 ; 4-byte Folded Spill
	buffer_load_dword v3, off, s[0:3], s4   ; 4-byte Folded Reload
	s_mov_b32 s4, 0x4dd00
	buffer_load_dword v6, off, s[0:3], s4   ; 4-byte Folded Reload
	s_mov_b32 s4, 0x48000
	s_waitcnt vmcnt(0)
	v_fma_f32 v18, v0, v6, v3
	buffer_load_dword v3, off, s[0:3], s4   ; 4-byte Folded Reload
	s_mov_b32 s4, 0x48100
	buffer_load_dword v6, off, s[0:3], s4   ; 4-byte Folded Reload
	s_mov_b32 s4, 0x48500
	s_waitcnt vmcnt(0)
	v_fma_f32 v19, v0, v6, v3
	;; [unrolled: 6-line block ×3, first 2 shown]
	buffer_load_dword v3, off, s[0:3], s4   ; 4-byte Folded Reload
	s_mov_b32 s4, 0x48300
	s_waitcnt vmcnt(0)
	v_fmac_f32_e32 v22, v1, v3
	buffer_load_dword v3, off, s[0:3], s4   ; 4-byte Folded Reload
	s_mov_b32 s4, 0x48400
	buffer_load_dword v6, off, s[0:3], s4   ; 4-byte Folded Reload
	s_mov_b32 s4, 0x40e00
	s_waitcnt vmcnt(0)
	v_fma_f32 v26, v0, v6, v3
	buffer_load_dword v3, off, s[0:3], s4   ; 4-byte Folded Reload
	s_mov_b32 s4, 0x48600
	s_waitcnt vmcnt(0)
	v_fmac_f32_e32 v26, v1, v3
	buffer_load_dword v3, off, s[0:3], s4   ; 4-byte Folded Reload
	s_mov_b32 s4, 0x48700
	buffer_load_dword v6, off, s[0:3], s4   ; 4-byte Folded Reload
	s_mov_b32 s4, 0x41300
	s_waitcnt vmcnt(0)
	v_fma_f32 v23, v0, v6, v3
	buffer_load_dword v3, off, s[0:3], s4   ; 4-byte Folded Reload
	s_mov_b32 s4, 0x41100
	buffer_load_dword v28, off, s[0:3], s4  ; 4-byte Folded Reload
	buffer_load_dword v29, off, s[0:3], s4 offset:4 ; 4-byte Folded Reload
	s_mov_b32 s4, 0x48b00
	s_waitcnt vmcnt(2)
	v_fmac_f32_e32 v23, v1, v3
	s_waitcnt vmcnt(0)
	v_pk_fma_f32 v[22:23], v[2:3], v[28:29], v[22:23] op_sel_hi:[0,1,1]
	buffer_store_dword v22, off, s[0:3], 0 offset:3864 ; 4-byte Folded Spill
	s_nop 0
	buffer_store_dword v23, off, s[0:3], 0 offset:3868 ; 4-byte Folded Spill
	buffer_load_dword v3, off, s[0:3], s4   ; 4-byte Folded Reload
	s_mov_b32 s4, 0x4e300
	buffer_load_dword v6, off, s[0:3], s4   ; 4-byte Folded Reload
	s_mov_b32 s4, 0x4e400
	s_waitcnt vmcnt(0)
	v_fma_f32 v27, v0, v6, v3
	buffer_load_dword v3, off, s[0:3], s4   ; 4-byte Folded Reload
	s_mov_b32 s4, 0x40f00
	buffer_load_dword v22, off, s[0:3], s4  ; 4-byte Folded Reload
	buffer_load_dword v23, off, s[0:3], s4 offset:4 ; 4-byte Folded Reload
	s_mov_b32 s4, 0x48800
	s_waitcnt vmcnt(2)
	v_fmac_f32_e32 v27, v1, v3
	s_waitcnt vmcnt(0)
	v_pk_fma_f32 v[22:23], v[2:3], v[22:23], v[26:27] op_sel_hi:[0,1,1]
	buffer_store_dword v22, off, s[0:3], 0 offset:3872 ; 4-byte Folded Spill
	s_nop 0
	buffer_store_dword v23, off, s[0:3], 0 offset:3876 ; 4-byte Folded Spill
	buffer_load_dword v3, off, s[0:3], s4   ; 4-byte Folded Reload
	s_mov_b32 s4, 0x4e200
	buffer_load_dword v6, off, s[0:3], s4   ; 4-byte Folded Reload
	s_mov_b32 s4, 0x48900
	s_waitcnt vmcnt(0)
	v_fma_f32 v22, v0, v6, v3
	buffer_load_dword v3, off, s[0:3], s4   ; 4-byte Folded Reload
	s_mov_b32 s4, 0x48a00
	buffer_load_dword v6, off, s[0:3], s4   ; 4-byte Folded Reload
	s_mov_b32 s4, 0x48e00
	s_waitcnt vmcnt(0)
	v_fma_f32 v23, v0, v6, v3
	buffer_load_dword v3, off, s[0:3], s4   ; 4-byte Folded Reload
	s_mov_b32 s4, 0x4e500
	buffer_load_dword v6, off, s[0:3], s4   ; 4-byte Folded Reload
	s_mov_b32 s4, 0x4e600
	s_waitcnt vmcnt(0)
	v_fma_f32 v26, v0, v6, v3
	buffer_load_dword v3, off, s[0:3], s4   ; 4-byte Folded Reload
	s_mov_b32 s4, 0x48c00
	s_waitcnt vmcnt(0)
	v_fmac_f32_e32 v26, v1, v3
	buffer_load_dword v3, off, s[0:3], s4   ; 4-byte Folded Reload
	s_mov_b32 s4, 0x48d00
	buffer_load_dword v6, off, s[0:3], s4   ; 4-byte Folded Reload
	s_mov_b32 s4, 0x41800
	s_waitcnt vmcnt(0)
	v_fma_f32 v28, v0, v6, v3
	buffer_load_dword v3, off, s[0:3], s4   ; 4-byte Folded Reload
	s_mov_b32 s4, 0x41d00
	s_waitcnt vmcnt(0)
	v_fmac_f32_e32 v28, v1, v3
	buffer_load_dword v3, off, s[0:3], s4   ; 4-byte Folded Reload
	s_mov_b32 s4, 0x48f00
	buffer_load_dword v6, off, s[0:3], s4   ; 4-byte Folded Reload
	s_mov_b32 s4, 0x41e00
	s_waitcnt vmcnt(0)
	v_fma_f32 v27, v0, v6, v3
	buffer_load_dword v3, off, s[0:3], s4   ; 4-byte Folded Reload
	s_mov_b32 s4, 0x41b00
	buffer_load_dword v30, off, s[0:3], s4  ; 4-byte Folded Reload
	buffer_load_dword v31, off, s[0:3], s4 offset:4 ; 4-byte Folded Reload
	s_mov_b32 s4, 0x49300
	s_waitcnt vmcnt(2)
	v_fmac_f32_e32 v27, v1, v3
	s_waitcnt vmcnt(0)
	v_pk_fma_f32 v[26:27], v[2:3], v[30:31], v[26:27] op_sel_hi:[0,1,1]
	buffer_store_dword v26, off, s[0:3], 0 offset:3880 ; 4-byte Folded Spill
	s_nop 0
	buffer_store_dword v27, off, s[0:3], 0 offset:3884 ; 4-byte Folded Spill
	buffer_load_dword v3, off, s[0:3], s4   ; 4-byte Folded Reload
	s_mov_b32 s4, 0x4e800
	buffer_load_dword v6, off, s[0:3], s4   ; 4-byte Folded Reload
	s_mov_b32 s4, 0x4e900
	s_waitcnt vmcnt(0)
	v_fma_f32 v29, v0, v6, v3
	buffer_load_dword v3, off, s[0:3], s4   ; 4-byte Folded Reload
	s_mov_b32 s4, 0x41900
	buffer_load_dword v26, off, s[0:3], s4  ; 4-byte Folded Reload
	buffer_load_dword v27, off, s[0:3], s4 offset:4 ; 4-byte Folded Reload
	s_mov_b32 s4, 0x49000
	s_waitcnt vmcnt(2)
	v_fmac_f32_e32 v29, v1, v3
	s_waitcnt vmcnt(0)
	v_pk_fma_f32 v[26:27], v[2:3], v[26:27], v[28:29] op_sel_hi:[0,1,1]
	buffer_store_dword v26, off, s[0:3], 0 offset:3888 ; 4-byte Folded Spill
	s_nop 0
	buffer_store_dword v27, off, s[0:3], 0 offset:3892 ; 4-byte Folded Spill
	buffer_load_dword v3, off, s[0:3], s4   ; 4-byte Folded Reload
	s_mov_b32 s4, 0x4e700
	buffer_load_dword v6, off, s[0:3], s4   ; 4-byte Folded Reload
	s_mov_b32 s4, 0x49100
	s_waitcnt vmcnt(0)
	v_fma_f32 v26, v0, v6, v3
	buffer_load_dword v3, off, s[0:3], s4   ; 4-byte Folded Reload
	s_mov_b32 s4, 0x49200
	buffer_load_dword v6, off, s[0:3], s4   ; 4-byte Folded Reload
	s_mov_b32 s4, 0x49600
	s_waitcnt vmcnt(0)
	v_fma_f32 v27, v0, v6, v3
	;; [unrolled: 6-line block ×3, first 2 shown]
	buffer_load_dword v3, off, s[0:3], s4   ; 4-byte Folded Reload
	s_mov_b32 s4, 0x49400
	s_waitcnt vmcnt(0)
	v_fmac_f32_e32 v28, v1, v3
	buffer_load_dword v3, off, s[0:3], s4   ; 4-byte Folded Reload
	s_mov_b32 s4, 0x49500
	buffer_load_dword v6, off, s[0:3], s4   ; 4-byte Folded Reload
	s_mov_b32 s4, 0x42300
	s_waitcnt vmcnt(0)
	v_fma_f32 v30, v0, v6, v3
	buffer_load_dword v3, off, s[0:3], s4   ; 4-byte Folded Reload
	s_mov_b32 s4, 0x42800
	s_waitcnt vmcnt(0)
	v_fmac_f32_e32 v30, v1, v3
	buffer_load_dword v3, off, s[0:3], s4   ; 4-byte Folded Reload
	s_mov_b32 s4, 0x49700
	buffer_load_dword v6, off, s[0:3], s4   ; 4-byte Folded Reload
	s_mov_b32 s4, 0x42900
	s_waitcnt vmcnt(0)
	v_fma_f32 v29, v0, v6, v3
	buffer_load_dword v3, off, s[0:3], s4   ; 4-byte Folded Reload
	s_mov_b32 s4, 0x42600
	buffer_load_dword v32, off, s[0:3], s4  ; 4-byte Folded Reload
	buffer_load_dword v33, off, s[0:3], s4 offset:4 ; 4-byte Folded Reload
	s_mov_b32 s4, 0x49b00
	s_waitcnt vmcnt(2)
	v_fmac_f32_e32 v29, v1, v3
	s_waitcnt vmcnt(0)
	v_pk_fma_f32 v[28:29], v[2:3], v[32:33], v[28:29] op_sel_hi:[0,1,1]
	buffer_store_dword v28, off, s[0:3], 0 offset:3896 ; 4-byte Folded Spill
	s_nop 0
	buffer_store_dword v29, off, s[0:3], 0 offset:3900 ; 4-byte Folded Spill
	buffer_load_dword v3, off, s[0:3], s4   ; 4-byte Folded Reload
	s_mov_b32 s4, 0x4ed00
	buffer_load_dword v6, off, s[0:3], s4   ; 4-byte Folded Reload
	s_mov_b32 s4, 0x4ee00
	s_waitcnt vmcnt(0)
	v_fma_f32 v31, v0, v6, v3
	buffer_load_dword v3, off, s[0:3], s4   ; 4-byte Folded Reload
	s_mov_b32 s4, 0x42400
	buffer_load_dword v28, off, s[0:3], s4  ; 4-byte Folded Reload
	buffer_load_dword v29, off, s[0:3], s4 offset:4 ; 4-byte Folded Reload
	s_mov_b32 s4, 0x49800
	s_waitcnt vmcnt(2)
	v_fmac_f32_e32 v31, v1, v3
	s_waitcnt vmcnt(0)
	v_pk_fma_f32 v[28:29], v[2:3], v[28:29], v[30:31] op_sel_hi:[0,1,1]
	buffer_store_dword v28, off, s[0:3], 0 offset:3904 ; 4-byte Folded Spill
	s_nop 0
	buffer_store_dword v29, off, s[0:3], 0 offset:3908 ; 4-byte Folded Spill
	buffer_load_dword v3, off, s[0:3], s4   ; 4-byte Folded Reload
	s_mov_b32 s4, 0x4ec00
	buffer_load_dword v6, off, s[0:3], s4   ; 4-byte Folded Reload
	s_mov_b32 s4, 0x49900
	s_waitcnt vmcnt(0)
	v_fma_f32 v28, v0, v6, v3
	buffer_load_dword v3, off, s[0:3], s4   ; 4-byte Folded Reload
	s_mov_b32 s4, 0x49a00
	buffer_load_dword v6, off, s[0:3], s4   ; 4-byte Folded Reload
	s_mov_b32 s4, 0x49e00
	s_waitcnt vmcnt(0)
	v_fma_f32 v29, v0, v6, v3
	;; [unrolled: 6-line block ×3, first 2 shown]
	buffer_load_dword v3, off, s[0:3], s4   ; 4-byte Folded Reload
	s_mov_b32 s4, 0x49c00
	s_waitcnt vmcnt(0)
	v_fmac_f32_e32 v30, v1, v3
	buffer_load_dword v3, off, s[0:3], s4   ; 4-byte Folded Reload
	s_mov_b32 s4, 0x49d00
	buffer_load_dword v6, off, s[0:3], s4   ; 4-byte Folded Reload
	s_mov_b32 s4, 0x42e00
	s_waitcnt vmcnt(0)
	v_fma_f32 v32, v0, v6, v3
	buffer_load_dword v3, off, s[0:3], s4   ; 4-byte Folded Reload
	s_mov_b32 s4, 0x43300
	s_waitcnt vmcnt(0)
	v_fmac_f32_e32 v32, v1, v3
	buffer_load_dword v3, off, s[0:3], s4   ; 4-byte Folded Reload
	s_mov_b32 s4, 0x49f00
	buffer_load_dword v6, off, s[0:3], s4   ; 4-byte Folded Reload
	s_mov_b32 s4, 0x43400
	s_waitcnt vmcnt(0)
	v_fma_f32 v31, v0, v6, v3
	buffer_load_dword v3, off, s[0:3], s4   ; 4-byte Folded Reload
	s_mov_b32 s4, 0x43100
	buffer_load_dword v34, off, s[0:3], s4  ; 4-byte Folded Reload
	buffer_load_dword v35, off, s[0:3], s4 offset:4 ; 4-byte Folded Reload
	s_mov_b32 s4, 0x4a300
	s_waitcnt vmcnt(2)
	v_fmac_f32_e32 v31, v1, v3
	s_waitcnt vmcnt(0)
	v_pk_fma_f32 v[30:31], v[2:3], v[34:35], v[30:31] op_sel_hi:[0,1,1]
	buffer_store_dword v30, off, s[0:3], 0 offset:3912 ; 4-byte Folded Spill
	s_nop 0
	buffer_store_dword v31, off, s[0:3], 0 offset:3916 ; 4-byte Folded Spill
	buffer_load_dword v3, off, s[0:3], s4   ; 4-byte Folded Reload
	s_mov_b32 s4, 0x4f200
	buffer_load_dword v6, off, s[0:3], s4   ; 4-byte Folded Reload
	s_mov_b32 s4, 0x4f300
	s_waitcnt vmcnt(0)
	v_fma_f32 v33, v0, v6, v3
	buffer_load_dword v3, off, s[0:3], s4   ; 4-byte Folded Reload
	s_mov_b32 s4, 0x42f00
	buffer_load_dword v30, off, s[0:3], s4  ; 4-byte Folded Reload
	buffer_load_dword v31, off, s[0:3], s4 offset:4 ; 4-byte Folded Reload
	s_mov_b32 s4, 0x4a000
	s_waitcnt vmcnt(2)
	v_fmac_f32_e32 v33, v1, v3
	s_waitcnt vmcnt(0)
	v_pk_fma_f32 v[30:31], v[2:3], v[30:31], v[32:33] op_sel_hi:[0,1,1]
	buffer_store_dword v30, off, s[0:3], 0 offset:3920 ; 4-byte Folded Spill
	s_nop 0
	buffer_store_dword v31, off, s[0:3], 0 offset:3924 ; 4-byte Folded Spill
	buffer_load_dword v3, off, s[0:3], s4   ; 4-byte Folded Reload
	s_mov_b32 s4, 0x4f100
	buffer_load_dword v6, off, s[0:3], s4   ; 4-byte Folded Reload
	s_mov_b32 s4, 0x4a100
	s_waitcnt vmcnt(0)
	v_fma_f32 v30, v0, v6, v3
	buffer_load_dword v3, off, s[0:3], s4   ; 4-byte Folded Reload
	s_mov_b32 s4, 0x4a200
	buffer_load_dword v6, off, s[0:3], s4   ; 4-byte Folded Reload
	s_mov_b32 s4, 0x4a600
	s_waitcnt vmcnt(0)
	v_fma_f32 v31, v0, v6, v3
	;; [unrolled: 6-line block ×3, first 2 shown]
	buffer_load_dword v3, off, s[0:3], s4   ; 4-byte Folded Reload
	s_mov_b32 s4, 0x4a400
	s_waitcnt vmcnt(0)
	v_fmac_f32_e32 v32, v1, v3
	buffer_load_dword v3, off, s[0:3], s4   ; 4-byte Folded Reload
	s_mov_b32 s4, 0x4a500
	buffer_load_dword v6, off, s[0:3], s4   ; 4-byte Folded Reload
	s_mov_b32 s4, 0x43900
	s_waitcnt vmcnt(0)
	v_fma_f32 v34, v0, v6, v3
	buffer_load_dword v3, off, s[0:3], s4   ; 4-byte Folded Reload
	s_mov_b32 s4, 0x43e00
	s_waitcnt vmcnt(0)
	v_fmac_f32_e32 v34, v1, v3
	buffer_load_dword v3, off, s[0:3], s4   ; 4-byte Folded Reload
	s_mov_b32 s4, 0x4a700
	buffer_load_dword v6, off, s[0:3], s4   ; 4-byte Folded Reload
	s_mov_b32 s4, 0x43f00
	s_waitcnt vmcnt(0)
	v_fma_f32 v33, v0, v6, v3
	buffer_load_dword v3, off, s[0:3], s4   ; 4-byte Folded Reload
	s_mov_b32 s4, 0x43c00
	buffer_load_dword v36, off, s[0:3], s4  ; 4-byte Folded Reload
	buffer_load_dword v37, off, s[0:3], s4 offset:4 ; 4-byte Folded Reload
	s_mov_b32 s4, 0x4ab00
	s_waitcnt vmcnt(2)
	v_fmac_f32_e32 v33, v1, v3
	s_waitcnt vmcnt(0)
	v_pk_fma_f32 v[32:33], v[2:3], v[36:37], v[32:33] op_sel_hi:[0,1,1]
	buffer_store_dword v32, off, s[0:3], 0 offset:3928 ; 4-byte Folded Spill
	s_nop 0
	buffer_store_dword v33, off, s[0:3], 0 offset:3932 ; 4-byte Folded Spill
	buffer_load_dword v3, off, s[0:3], s4   ; 4-byte Folded Reload
	s_mov_b32 s4, 0x4f700
	buffer_load_dword v6, off, s[0:3], s4   ; 4-byte Folded Reload
	s_mov_b32 s4, 0x4f800
	s_waitcnt vmcnt(0)
	v_fma_f32 v35, v0, v6, v3
	buffer_load_dword v3, off, s[0:3], s4   ; 4-byte Folded Reload
	s_mov_b32 s4, 0x43a00
	buffer_load_dword v32, off, s[0:3], s4  ; 4-byte Folded Reload
	buffer_load_dword v33, off, s[0:3], s4 offset:4 ; 4-byte Folded Reload
	s_mov_b32 s4, 0x4a800
	s_waitcnt vmcnt(2)
	v_fmac_f32_e32 v35, v1, v3
	s_waitcnt vmcnt(0)
	v_pk_fma_f32 v[32:33], v[2:3], v[32:33], v[34:35] op_sel_hi:[0,1,1]
	buffer_store_dword v32, off, s[0:3], 0 offset:3936 ; 4-byte Folded Spill
	s_nop 0
	buffer_store_dword v33, off, s[0:3], 0 offset:3940 ; 4-byte Folded Spill
	buffer_load_dword v3, off, s[0:3], s4   ; 4-byte Folded Reload
	s_mov_b32 s4, 0x4f600
	buffer_load_dword v6, off, s[0:3], s4   ; 4-byte Folded Reload
	s_mov_b32 s4, 0x4a900
	s_waitcnt vmcnt(0)
	v_fma_f32 v32, v0, v6, v3
	buffer_load_dword v3, off, s[0:3], s4   ; 4-byte Folded Reload
	s_mov_b32 s4, 0x4aa00
	buffer_load_dword v6, off, s[0:3], s4   ; 4-byte Folded Reload
	s_mov_b32 s4, 0x4ae00
	s_waitcnt vmcnt(0)
	v_fma_f32 v33, v0, v6, v3
	;; [unrolled: 6-line block ×3, first 2 shown]
	buffer_load_dword v3, off, s[0:3], s4   ; 4-byte Folded Reload
	s_mov_b32 s4, 0x4ac00
	s_waitcnt vmcnt(0)
	v_fmac_f32_e32 v34, v1, v3
	buffer_load_dword v3, off, s[0:3], s4   ; 4-byte Folded Reload
	s_mov_b32 s4, 0x4ad00
	buffer_load_dword v6, off, s[0:3], s4   ; 4-byte Folded Reload
	s_mov_b32 s4, 0x44400
	s_waitcnt vmcnt(0)
	v_fma_f32 v36, v0, v6, v3
	buffer_load_dword v3, off, s[0:3], s4   ; 4-byte Folded Reload
	s_mov_b32 s4, 0x44900
	s_waitcnt vmcnt(0)
	v_fmac_f32_e32 v36, v1, v3
	buffer_load_dword v3, off, s[0:3], s4   ; 4-byte Folded Reload
	s_mov_b32 s4, 0x4af00
	buffer_load_dword v6, off, s[0:3], s4   ; 4-byte Folded Reload
	s_mov_b32 s4, 0x44a00
	s_waitcnt vmcnt(0)
	v_fma_f32 v35, v0, v6, v3
	buffer_load_dword v3, off, s[0:3], s4   ; 4-byte Folded Reload
	s_mov_b32 s4, 0x44700
	buffer_load_dword v38, off, s[0:3], s4  ; 4-byte Folded Reload
	buffer_load_dword v39, off, s[0:3], s4 offset:4 ; 4-byte Folded Reload
	s_mov_b32 s4, 0x4b300
	s_waitcnt vmcnt(2)
	v_fmac_f32_e32 v35, v1, v3
	s_waitcnt vmcnt(0)
	v_pk_fma_f32 v[34:35], v[2:3], v[38:39], v[34:35] op_sel_hi:[0,1,1]
	buffer_store_dword v34, off, s[0:3], 0 offset:3944 ; 4-byte Folded Spill
	s_nop 0
	buffer_store_dword v35, off, s[0:3], 0 offset:3948 ; 4-byte Folded Spill
	buffer_load_dword v3, off, s[0:3], s4   ; 4-byte Folded Reload
	s_mov_b32 s4, 0x4fc00
	buffer_load_dword v6, off, s[0:3], s4   ; 4-byte Folded Reload
	s_mov_b32 s4, 0x4fd00
	s_waitcnt vmcnt(0)
	v_fma_f32 v37, v0, v6, v3
	buffer_load_dword v3, off, s[0:3], s4   ; 4-byte Folded Reload
	s_mov_b32 s4, 0x44500
	buffer_load_dword v34, off, s[0:3], s4  ; 4-byte Folded Reload
	buffer_load_dword v35, off, s[0:3], s4 offset:4 ; 4-byte Folded Reload
	s_mov_b32 s4, 0x4b000
	s_waitcnt vmcnt(2)
	v_fmac_f32_e32 v37, v1, v3
	s_waitcnt vmcnt(0)
	v_pk_fma_f32 v[34:35], v[2:3], v[34:35], v[36:37] op_sel_hi:[0,1,1]
	buffer_store_dword v34, off, s[0:3], 0 offset:3952 ; 4-byte Folded Spill
	s_nop 0
	buffer_store_dword v35, off, s[0:3], 0 offset:3956 ; 4-byte Folded Spill
	buffer_load_dword v3, off, s[0:3], s4   ; 4-byte Folded Reload
	s_mov_b32 s4, 0x4fb00
	buffer_load_dword v6, off, s[0:3], s4   ; 4-byte Folded Reload
	s_mov_b32 s4, 0x4b100
	s_waitcnt vmcnt(0)
	v_fma_f32 v34, v0, v6, v3
	buffer_load_dword v3, off, s[0:3], s4   ; 4-byte Folded Reload
	s_mov_b32 s4, 0x4b200
	buffer_load_dword v6, off, s[0:3], s4   ; 4-byte Folded Reload
	s_mov_b32 s4, 0x4b600
	s_waitcnt vmcnt(0)
	v_fma_f32 v35, v0, v6, v3
	;; [unrolled: 6-line block ×3, first 2 shown]
	buffer_load_dword v3, off, s[0:3], s4   ; 4-byte Folded Reload
	s_mov_b32 s4, 0x4b400
	s_waitcnt vmcnt(0)
	v_fmac_f32_e32 v36, v1, v3
	buffer_load_dword v3, off, s[0:3], s4   ; 4-byte Folded Reload
	s_mov_b32 s4, 0x4b500
	buffer_load_dword v6, off, s[0:3], s4   ; 4-byte Folded Reload
	s_mov_b32 s4, 0x44f00
	s_waitcnt vmcnt(0)
	v_fma_f32 v38, v0, v6, v3
	buffer_load_dword v3, off, s[0:3], s4   ; 4-byte Folded Reload
	s_mov_b32 s4, 0x45400
	s_waitcnt vmcnt(0)
	v_fmac_f32_e32 v38, v1, v3
	buffer_load_dword v3, off, s[0:3], s4   ; 4-byte Folded Reload
	s_mov_b32 s4, 0x4b700
	buffer_load_dword v6, off, s[0:3], s4   ; 4-byte Folded Reload
	s_mov_b32 s4, 0x45500
	s_waitcnt vmcnt(0)
	v_fma_f32 v37, v0, v6, v3
	buffer_load_dword v3, off, s[0:3], s4   ; 4-byte Folded Reload
	s_mov_b32 s4, 0x45200
	buffer_load_dword v40, off, s[0:3], s4  ; 4-byte Folded Reload
	buffer_load_dword v41, off, s[0:3], s4 offset:4 ; 4-byte Folded Reload
	s_mov_b32 s4, 0x4bb00
	s_waitcnt vmcnt(2)
	v_fmac_f32_e32 v37, v1, v3
	s_waitcnt vmcnt(0)
	v_pk_fma_f32 v[36:37], v[2:3], v[40:41], v[36:37] op_sel_hi:[0,1,1]
	buffer_store_dword v36, off, s[0:3], 0 offset:3960 ; 4-byte Folded Spill
	s_nop 0
	buffer_store_dword v37, off, s[0:3], 0 offset:3964 ; 4-byte Folded Spill
	buffer_load_dword v3, off, s[0:3], s4   ; 4-byte Folded Reload
	s_mov_b32 s4, 0x50100
	buffer_load_dword v6, off, s[0:3], s4   ; 4-byte Folded Reload
	s_mov_b32 s4, 0x50200
	s_waitcnt vmcnt(0)
	v_fma_f32 v39, v0, v6, v3
	buffer_load_dword v3, off, s[0:3], s4   ; 4-byte Folded Reload
	s_mov_b32 s4, 0x45000
	buffer_load_dword v36, off, s[0:3], s4  ; 4-byte Folded Reload
	buffer_load_dword v37, off, s[0:3], s4 offset:4 ; 4-byte Folded Reload
	s_mov_b32 s4, 0x4b800
	s_waitcnt vmcnt(2)
	v_fmac_f32_e32 v39, v1, v3
	s_waitcnt vmcnt(0)
	v_pk_fma_f32 v[48:49], v[2:3], v[36:37], v[38:39] op_sel_hi:[0,1,1]
	buffer_load_dword v3, off, s[0:3], s4   ; 4-byte Folded Reload
	s_mov_b32 s4, 0x50000
	buffer_load_dword v6, off, s[0:3], s4   ; 4-byte Folded Reload
	s_mov_b32 s4, 0x4b900
	s_waitcnt vmcnt(0)
	v_fma_f32 v36, v0, v6, v3
	buffer_load_dword v3, off, s[0:3], s4   ; 4-byte Folded Reload
	s_mov_b32 s4, 0x4ba00
	buffer_load_dword v6, off, s[0:3], s4   ; 4-byte Folded Reload
	s_mov_b32 s4, 0x4be00
	s_waitcnt vmcnt(0)
	v_fma_f32 v37, v0, v6, v3
	;; [unrolled: 6-line block ×3, first 2 shown]
	buffer_load_dword v3, off, s[0:3], s4   ; 4-byte Folded Reload
	s_mov_b32 s4, 0x4bc00
	s_waitcnt vmcnt(0)
	v_fmac_f32_e32 v38, v1, v3
	buffer_load_dword v3, off, s[0:3], s4   ; 4-byte Folded Reload
	s_mov_b32 s4, 0x4bd00
	buffer_load_dword v6, off, s[0:3], s4   ; 4-byte Folded Reload
	s_mov_b32 s4, 0x45a00
	s_waitcnt vmcnt(0)
	v_fma_f32 v40, v0, v6, v3
	buffer_load_dword v3, off, s[0:3], s4   ; 4-byte Folded Reload
	s_mov_b32 s4, 0x46300
	s_waitcnt vmcnt(0)
	v_fmac_f32_e32 v40, v1, v3
	buffer_load_dword v3, off, s[0:3], s4   ; 4-byte Folded Reload
	s_mov_b32 s4, 0x4bf00
	buffer_load_dword v6, off, s[0:3], s4   ; 4-byte Folded Reload
	s_mov_b32 s4, 0x46400
	s_waitcnt vmcnt(0)
	v_fma_f32 v39, v0, v6, v3
	buffer_load_dword v3, off, s[0:3], s4   ; 4-byte Folded Reload
	s_mov_b32 s4, 0x45d00
	buffer_load_dword v42, off, s[0:3], s4  ; 4-byte Folded Reload
	buffer_load_dword v43, off, s[0:3], s4 offset:4 ; 4-byte Folded Reload
	s_mov_b32 s4, 0x4c300
	s_waitcnt vmcnt(2)
	v_fmac_f32_e32 v39, v1, v3
	s_waitcnt vmcnt(0)
	v_pk_fma_f32 v[50:51], v[2:3], v[42:43], v[38:39] op_sel_hi:[0,1,1]
	buffer_load_dword v3, off, s[0:3], s4   ; 4-byte Folded Reload
	s_mov_b32 s4, 0x50600
	buffer_load_dword v6, off, s[0:3], s4   ; 4-byte Folded Reload
	s_mov_b32 s4, 0x50700
	s_waitcnt vmcnt(0)
	v_fma_f32 v41, v0, v6, v3
	buffer_load_dword v3, off, s[0:3], s4   ; 4-byte Folded Reload
	s_mov_b32 s4, 0x45b00
	buffer_load_dword v38, off, s[0:3], s4  ; 4-byte Folded Reload
	buffer_load_dword v39, off, s[0:3], s4 offset:4 ; 4-byte Folded Reload
	s_mov_b32 s4, 0x4c000
	s_waitcnt vmcnt(2)
	v_fmac_f32_e32 v41, v1, v3
	s_waitcnt vmcnt(0)
	v_pk_fma_f32 v[52:53], v[2:3], v[38:39], v[40:41] op_sel_hi:[0,1,1]
	buffer_load_dword v3, off, s[0:3], s4   ; 4-byte Folded Reload
	s_mov_b32 s4, 0x50500
	buffer_load_dword v6, off, s[0:3], s4   ; 4-byte Folded Reload
	s_mov_b32 s4, 0x4c100
	s_waitcnt vmcnt(0)
	v_fma_f32 v38, v0, v6, v3
	buffer_load_dword v3, off, s[0:3], s4   ; 4-byte Folded Reload
	s_mov_b32 s4, 0x4c200
	buffer_load_dword v6, off, s[0:3], s4   ; 4-byte Folded Reload
	s_mov_b32 s4, 0x50800
	s_waitcnt vmcnt(0)
	v_fma_f32 v39, v0, v6, v3
	;; [unrolled: 6-line block ×3, first 2 shown]
	buffer_load_dword v3, off, s[0:3], s4   ; 4-byte Folded Reload
	s_mov_b32 s4, 0x50b00
	s_waitcnt vmcnt(0)
	v_fmac_f32_e32 v10, v1, v3
	buffer_load_dword v3, off, s[0:3], s4   ; 4-byte Folded Reload
	s_mov_b32 s4, 0x50f00
	buffer_load_dword v6, off, s[0:3], s4   ; 4-byte Folded Reload
	s_mov_b32 s4, 0x50c00
	s_waitcnt vmcnt(0)
	v_fma_f32 v6, v0, v3, v6
	buffer_load_dword v3, off, s[0:3], s4   ; 4-byte Folded Reload
	s_mov_b32 s4, 0x50d00
	s_waitcnt vmcnt(0)
	v_fmac_f32_e32 v6, v1, v3
	buffer_load_dword v3, off, s[0:3], s4   ; 4-byte Folded Reload
	s_mov_b32 s4, 0x50e00
	buffer_load_dword v8, off, s[0:3], s4   ; 4-byte Folded Reload
	s_nop 0
	buffer_store_dword v24, off, s[0:3], 0 offset:3976 ; 4-byte Folded Spill
	s_nop 0
	buffer_store_dword v25, off, s[0:3], 0 offset:3980 ; 4-byte Folded Spill
	s_mov_b32 s4, 0x40000
	s_waitcnt vmcnt(3)
	v_pk_fma_f32 v[54:55], v[2:3], v[46:47], v[10:11] op_sel_hi:[0,1,1]
	v_mov_b32_e32 v10, v44
	buffer_store_dword v10, off, s[0:3], 0 offset:3968 ; 4-byte Folded Spill
	s_nop 0
	buffer_store_dword v11, off, s[0:3], 0 offset:3972 ; 4-byte Folded Spill
	v_pk_fma_f32 v[56:57], v[2:3], v[44:45], v[6:7] op_sel_hi:[0,1,1]
	buffer_load_dword v6, off, s[0:3], 0 offset:4016 ; 4-byte Folded Reload
	buffer_load_dword v7, off, s[0:3], 0 offset:4020 ; 4-byte Folded Reload
	buffer_load_dword v10, off, s[0:3], 0 offset:4024 ; 4-byte Folded Reload
	buffer_load_dword v11, off, s[0:3], 0 offset:4028 ; 4-byte Folded Reload
	s_waitcnt vmcnt(8)
	v_fma_f32 v8, v0, v8, v3
	v_mov_b32_e32 v46, 0x3e800000
	s_waitcnt vmcnt(2)
	v_pk_fma_f32 v[6:7], v[0:1], v[6:7], v[12:13] op_sel:[1,0,0]
	s_waitcnt vmcnt(0)
	v_pk_fma_f32 v[58:59], v[2:3], v[10:11], v[6:7] op_sel_hi:[0,1,1]
	buffer_load_dword v6, off, s[0:3], 0 offset:4056 ; 4-byte Folded Reload
	buffer_load_dword v7, off, s[0:3], 0 offset:4060 ; 4-byte Folded Reload
	;; [unrolled: 1-line block ×4, first 2 shown]
	s_waitcnt vmcnt(2)
	v_pk_fma_f32 v[6:7], v[0:1], v[6:7], v[14:15] op_sel:[1,0,0]
	s_waitcnt vmcnt(0)
	v_pk_fma_f32 v[60:61], v[2:3], v[10:11], v[6:7] op_sel_hi:[0,1,1]
	buffer_load_dword v6, off, s[0:3], s4   ; 4-byte Folded Reload
	buffer_load_dword v7, off, s[0:3], s4 offset:4 ; 4-byte Folded Reload
	s_mov_b32 s4, 0x40200
	buffer_load_dword v10, off, s[0:3], s4  ; 4-byte Folded Reload
	buffer_load_dword v11, off, s[0:3], s4 offset:4 ; 4-byte Folded Reload
	s_mov_b32 s4, 0x40a00
	s_waitcnt vmcnt(2)
	v_pk_fma_f32 v[6:7], v[0:1], v[6:7], v[16:17] op_sel:[1,0,0]
	s_waitcnt vmcnt(0)
	v_pk_fma_f32 v[62:63], v[2:3], v[10:11], v[6:7] op_sel_hi:[0,1,1]
	buffer_load_dword v6, off, s[0:3], s4   ; 4-byte Folded Reload
	buffer_load_dword v7, off, s[0:3], s4 offset:4 ; 4-byte Folded Reload
	s_mov_b32 s4, 0x40c00
	buffer_load_dword v10, off, s[0:3], s4  ; 4-byte Folded Reload
	buffer_load_dword v11, off, s[0:3], s4 offset:4 ; 4-byte Folded Reload
	s_mov_b32 s4, 0x41400
	;; [unrolled: 10-line block ×9, first 2 shown]
	s_waitcnt vmcnt(2)
	v_pk_fma_f32 v[6:7], v[0:1], v[6:7], v[36:37] op_sel:[1,0,0]
	s_waitcnt vmcnt(0)
	v_pk_fma_f32 v[80:81], v[2:3], v[10:11], v[6:7] op_sel_hi:[0,1,1]
	buffer_load_dword v6, off, s[0:3], s4   ; 4-byte Folded Reload
	buffer_load_dword v7, off, s[0:3], s4 offset:4 ; 4-byte Folded Reload
	s_mov_b32 s4, 0x46100
	buffer_load_dword v10, off, s[0:3], s4  ; 4-byte Folded Reload
	buffer_load_dword v11, off, s[0:3], s4 offset:4 ; 4-byte Folded Reload
	s_waitcnt vmcnt(2)
	v_pk_fma_f32 v[6:7], v[0:1], v[6:7], v[38:39] op_sel:[1,0,0]
	v_pk_fma_f32 v[0:1], v[0:1], v[72:73], v[8:9] op_sel:[1,0,0]
	s_waitcnt vmcnt(0)
	v_pk_fma_f32 v[82:83], v[2:3], v[10:11], v[6:7] op_sel_hi:[0,1,1]
	v_mov_b32_e32 v6, v72
	buffer_store_dword v6, off, s[0:3], 0 offset:3984 ; 4-byte Folded Spill
	s_nop 0
	buffer_store_dword v7, off, s[0:3], 0 offset:3988 ; 4-byte Folded Spill
	v_mov_b32_e32 v6, v84
	buffer_store_dword v6, off, s[0:3], 0 offset:3992 ; 4-byte Folded Spill
	s_nop 0
	buffer_store_dword v7, off, s[0:3], 0 offset:3996 ; 4-byte Folded Spill
	v_pk_fma_f32 v[86:87], v[2:3], v[84:85], v[0:1] op_sel_hi:[0,1,1]
	buffer_load_dword v11, off, s[0:3], 0 offset:44
	buffer_load_dword v10, off, s[0:3], 0 offset:40
	;; [unrolled: 1-line block ×64, first 2 shown]
	v_lshlrev_b64 v[0:1], 4, v[4:5]
	v_mov_b32_e32 v2, s27
	v_add_co_u32_e32 v0, vcc, s26, v0
	v_addc_co_u32_e32 v1, vcc, v2, v1, vcc
	global_load_dwordx4 v[0:3], v[0:1], off
	s_waitcnt vmcnt(0)
	v_cmp_eq_u32_e64 s[8:9], s41, v0
	v_cmp_eq_u32_e64 s[10:11], s42, v0
	v_cmp_gt_f32_e64 s[12:13], 0, v2
	v_mov_b32_e32 v0, 0x40b00000
	v_cndmask_b32_e64 v27, 1.0, v0, s[12:13]
	v_mov_b32_e32 v0, 0xff7fffff
	v_cmp_lt_f32_e64 s[6:7], 0, v2
	v_cndmask_b32_e64 v31, v0, 1.0, s[12:13]
.LBB6_28:                               ;   Parent Loop BB6_27 Depth=1
                                        ; =>  This Inner Loop Header: Depth=2
	global_load_dwordx4 v[4:7], v20, s[34:35] offset:-8
	v_mov_b32_e32 v0, s27
	s_waitcnt vmcnt(0)
	v_ashrrev_i32_e32 v33, 31, v7
	v_mov_b32_e32 v32, v7
	v_lshlrev_b64 v[32:33], 4, v[32:33]
	v_add_co_u32_e32 v32, vcc, s26, v32
	v_addc_co_u32_e32 v33, vcc, v0, v33, vcc
	global_load_dwordx4 v[40:43], v[32:33], off
	s_waitcnt vmcnt(0)
	v_add_f32_e32 v30, v1, v41
	v_div_scale_f32 v0, s[4:5], v30, v30, 1.0
	v_rcp_f32_e32 v7, v0
	v_cmp_lt_f32_e64 s[4:5], 0, v42
	s_and_b64 s[4:5], s[4:5], s[12:13]
	v_cmp_neq_f32_e64 s[14:15], 0, v42
	v_fma_f32 v20, -v0, v7, 1.0
	v_fmac_f32_e32 v7, v20, v7
	v_div_scale_f32 v20, vcc, 1.0, v30, 1.0
	v_mul_f32_e32 v24, v20, v7
	v_fma_f32 v26, -v0, v24, v20
	v_fmac_f32_e32 v24, v26, v7
	v_fma_f32 v0, -v0, v24, v20
	v_div_fmas_f32 v0, v0, v7, v24
	v_cmp_eq_u32_e32 vcc, s41, v40
	s_and_b64 vcc, vcc, s[8:9]
	v_cndmask_b32_e64 v38, 2.0, 4.0, vcc
	v_cndmask_b32_e32 v20, 0.5, v46, vcc
	v_cmp_eq_u32_e32 vcc, s42, v40
	s_or_b64 s[36:37], vcc, s[10:11]
	v_cmp_gt_f32_e32 vcc, 0, v42
	v_cndmask_b32_e32 v33, v31, v27, vcc
	v_cndmask_b32_e64 v7, v2, -v2, s[4:5]
	v_div_scale_f32 v24, s[4:5], v33, v33, 1.0
	v_rcp_f32_e32 v26, v24
	s_and_b64 s[16:17], vcc, s[6:7]
	v_div_fixup_f32 v32, v0, v30, 1.0
	v_cndmask_b32_e64 v0, v42, -v42, s[16:17]
	v_fma_f32 v36, -v24, v26, 1.0
	v_fmac_f32_e32 v26, v36, v26
	v_div_scale_f32 v36, vcc, 1.0, v33, 1.0
	v_mul_f32_e32 v37, v36, v26
	v_fma_f32 v39, -v24, v37, v36
	v_fmac_f32_e32 v37, v39, v26
	v_fma_f32 v24, -v24, v37, v36
	v_div_fmas_f32 v24, v24, v26, v37
	buffer_load_dword v36, off, s[0:3], 0 offset:3800 ; 4-byte Folded Reload
	buffer_load_dword v37, off, s[0:3], 0 offset:3804 ; 4-byte Folded Reload
	;; [unrolled: 1-line block ×4, first 2 shown]
	v_mul_f32_e32 v26, v3, v43
	v_pk_add_f32 v[42:43], v[58:59], v[6:7] op_sel_hi:[1,0] neg_lo:[0,1] neg_hi:[0,1]
	v_add_f32_e32 v0, v0, v7
	v_div_fixup_f32 v24, v24, v33, 1.0
	s_waitcnt vmcnt(2)
	v_pk_add_f32 v[36:37], v[36:37], v[4:5] op_sel_hi:[1,0] neg_lo:[0,1] neg_hi:[0,1]
	s_waitcnt vmcnt(0)
	v_pk_add_f32 v[40:41], v[40:41], v[4:5] op_sel:[0,1] neg_lo:[0,1] neg_hi:[0,1]
	v_pk_mul_f32 v[40:41], v[40:41], v[40:41]
	v_pk_fma_f32 v[36:37], v[36:37], v[36:37], v[40:41]
	v_pk_fma_f32 v[36:37], v[42:43], v[42:43], v[36:37]
	v_cmp_gt_f32_e32 vcc, s43, v37
	v_mul_f32_e32 v7, 0x4f800000, v37
	v_cndmask_b32_e32 v7, v37, v7, vcc
	v_sqrt_f32_e32 v37, v7
	v_add_u32_e32 v39, -1, v37
	v_fma_f32 v40, -v39, v37, v7
	v_cmp_ge_f32_e64 s[4:5], 0, v40
	v_add_u32_e32 v40, 1, v37
	v_cndmask_b32_e64 v39, v37, v39, s[4:5]
	v_fma_f32 v37, -v40, v37, v7
	v_cmp_lt_f32_e64 s[4:5], 0, v37
	v_cndmask_b32_e64 v37, v39, v40, s[4:5]
	v_mul_f32_e32 v39, 0x37800000, v37
	v_cndmask_b32_e32 v37, v37, v39, vcc
	v_cmp_class_f32_e32 vcc, v7, v21
	v_cndmask_b32_e32 v37, v37, v7, vcc
	v_cmp_gt_f32_e32 vcc, s43, v36
	v_mul_f32_e32 v7, 0x4f800000, v36
	v_cndmask_b32_e32 v7, v36, v7, vcc
	v_sqrt_f32_e32 v36, v7
	v_add_u32_e32 v39, -1, v36
	v_fma_f32 v40, -v39, v36, v7
	v_cmp_ge_f32_e64 s[4:5], 0, v40
	v_add_u32_e32 v40, 1, v36
	v_cndmask_b32_e64 v39, v36, v39, s[4:5]
	v_fma_f32 v36, -v40, v36, v7
	v_cmp_lt_f32_e64 s[4:5], 0, v36
	v_cndmask_b32_e64 v36, v39, v40, s[4:5]
	v_mul_f32_e32 v39, 0x37800000, v36
	v_cndmask_b32_e32 v36, v36, v39, vcc
	v_cmp_class_f32_e32 vcc, v7, v21
	v_cndmask_b32_e32 v36, v36, v7, vcc
	v_pk_add_f32 v[40:41], v[36:37], v[30:31] op_sel_hi:[1,0] neg_lo:[0,1] neg_hi:[0,1]
	v_cmp_gt_f32_e32 vcc, 0, v40
	v_cmp_gt_f32_e64 s[4:5], 0, v41
	v_pk_fma_f32 v[36:37], v[32:33], v[36:37], 1.0 op_sel_hi:[0,1,0] neg_lo:[1,0,0] neg_hi:[1,0,0]
	v_cndmask_b32_e64 v43, 0, v25, s[4:5]
	v_cndmask_b32_e32 v42, 0, v25, vcc
	v_pk_fma_f32 v[36:37], v[36:37], v[42:43], v[44:45]
	v_pk_fma_f32 v[42:43], v[20:21], v[40:41], 1.0 op_sel_hi:[0,1,0] neg_lo:[1,0,0] neg_hi:[1,0,0]
	v_cmp_lt_f32_e64 s[16:17], v40, v38
	v_cmp_lt_f32_e64 s[20:21], v41, v38
	v_cndmask_b32_e64 v43, v43, 1.0, s[4:5]
	v_cndmask_b32_e64 v42, v42, 1.0, vcc
	v_cndmask_b32_e64 v45, 0, 1.0, s[20:21]
	v_cndmask_b32_e64 v44, 0, 1.0, s[16:17]
	v_pk_mul_f32 v[42:43], v[44:45], v[42:43]
	v_pk_mul_f32 v[42:43], v[26:27], v[42:43] op_sel_hi:[0,1]
	v_cmp_lt_f32_e64 s[16:17], v41, v33
	v_cmp_lt_f32_e64 s[20:21], v40, v33
	v_cndmask_b32_e64 v43, v43, -|v43|, s[36:37]
	v_cndmask_b32_e64 v42, v42, -|v42|, s[36:37]
	s_and_b64 s[20:21], s[14:15], s[20:21]
	s_and_b64 s[16:17], s[14:15], s[16:17]
	v_pk_fma_f32 v[36:37], v[42:43], s[30:31], v[36:37] op_sel_hi:[1,0,1]
	v_pk_fma_f32 v[42:43], v[24:25], v[40:41], 1.0 op_sel_hi:[0,1,0] neg_lo:[1,0,0] neg_hi:[1,0,0]
	v_cndmask_b32_e64 v41, 0, 1.0, s[16:17]
	v_cndmask_b32_e64 v40, 0, 1.0, s[20:21]
	v_pk_mul_f32 v[40:41], v[0:1], v[40:41] op_sel_hi:[0,1]
	v_cndmask_b32_e64 v43, v43, 1.0, s[4:5]
	v_cndmask_b32_e64 v42, v42, 1.0, vcc
	v_pk_fma_f32 v[44:45], v[42:43], v[40:41], v[36:37]
	buffer_load_dword v36, off, s[0:3], 0 offset:3816 ; 4-byte Folded Reload
	buffer_load_dword v37, off, s[0:3], 0 offset:3820 ; 4-byte Folded Reload
	;; [unrolled: 1-line block ×4, first 2 shown]
	v_pk_add_f32 v[42:43], v[60:61], v[6:7] op_sel_hi:[1,0] neg_lo:[0,1] neg_hi:[0,1]
	s_waitcnt vmcnt(2)
	v_pk_add_f32 v[36:37], v[36:37], v[4:5] op_sel_hi:[1,0] neg_lo:[0,1] neg_hi:[0,1]
	s_waitcnt vmcnt(0)
	v_pk_add_f32 v[40:41], v[40:41], v[4:5] op_sel:[0,1] neg_lo:[0,1] neg_hi:[0,1]
	v_pk_mul_f32 v[40:41], v[40:41], v[40:41]
	v_pk_fma_f32 v[36:37], v[36:37], v[36:37], v[40:41]
	v_pk_fma_f32 v[36:37], v[42:43], v[42:43], v[36:37]
	v_cmp_gt_f32_e32 vcc, s43, v37
	v_mul_f32_e32 v7, 0x4f800000, v37
	v_cndmask_b32_e32 v7, v37, v7, vcc
	v_sqrt_f32_e32 v37, v7
	v_add_u32_e32 v39, -1, v37
	v_fma_f32 v40, -v39, v37, v7
	v_cmp_ge_f32_e64 s[4:5], 0, v40
	v_add_u32_e32 v40, 1, v37
	v_cndmask_b32_e64 v39, v37, v39, s[4:5]
	v_fma_f32 v37, -v40, v37, v7
	v_cmp_lt_f32_e64 s[4:5], 0, v37
	v_cndmask_b32_e64 v37, v39, v40, s[4:5]
	v_mul_f32_e32 v39, 0x37800000, v37
	v_cndmask_b32_e32 v37, v37, v39, vcc
	v_cmp_class_f32_e32 vcc, v7, v21
	v_cndmask_b32_e32 v37, v37, v7, vcc
	v_cmp_gt_f32_e32 vcc, s43, v36
	v_mul_f32_e32 v7, 0x4f800000, v36
	v_cndmask_b32_e32 v7, v36, v7, vcc
	v_sqrt_f32_e32 v36, v7
	v_add_u32_e32 v39, -1, v36
	v_fma_f32 v40, -v39, v36, v7
	v_cmp_ge_f32_e64 s[4:5], 0, v40
	v_add_u32_e32 v40, 1, v36
	v_cndmask_b32_e64 v39, v36, v39, s[4:5]
	v_fma_f32 v36, -v40, v36, v7
	v_cmp_lt_f32_e64 s[4:5], 0, v36
	v_cndmask_b32_e64 v36, v39, v40, s[4:5]
	v_mul_f32_e32 v39, 0x37800000, v36
	v_cndmask_b32_e32 v36, v36, v39, vcc
	v_cmp_class_f32_e32 vcc, v7, v21
	v_cndmask_b32_e32 v36, v36, v7, vcc
	v_pk_add_f32 v[40:41], v[36:37], v[30:31] op_sel_hi:[1,0] neg_lo:[0,1] neg_hi:[0,1]
	v_cmp_gt_f32_e32 vcc, 0, v40
	v_cmp_gt_f32_e64 s[4:5], 0, v41
	v_pk_fma_f32 v[36:37], v[32:33], v[36:37], 1.0 op_sel_hi:[0,1,0] neg_lo:[1,0,0] neg_hi:[1,0,0]
	v_cndmask_b32_e64 v43, 0, v25, s[4:5]
	v_cndmask_b32_e32 v42, 0, v25, vcc
	v_pk_fma_f32 v[34:35], v[36:37], v[42:43], v[34:35]
	v_pk_fma_f32 v[36:37], v[20:21], v[40:41], 1.0 op_sel_hi:[0,1,0] neg_lo:[1,0,0] neg_hi:[1,0,0]
	v_cmp_lt_f32_e64 s[16:17], v40, v38
	v_cmp_lt_f32_e64 s[20:21], v41, v38
	v_cndmask_b32_e64 v37, v37, 1.0, s[4:5]
	v_cndmask_b32_e64 v36, v36, 1.0, vcc
	v_cndmask_b32_e64 v43, 0, 1.0, s[20:21]
	v_cndmask_b32_e64 v42, 0, 1.0, s[16:17]
	v_pk_mul_f32 v[36:37], v[42:43], v[36:37]
	v_pk_mul_f32 v[36:37], v[26:27], v[36:37] op_sel_hi:[0,1]
	v_cmp_lt_f32_e64 s[16:17], v41, v33
	v_cmp_lt_f32_e64 s[20:21], v40, v33
	v_cndmask_b32_e64 v37, v37, -|v37|, s[36:37]
	v_cndmask_b32_e64 v36, v36, -|v36|, s[36:37]
	s_and_b64 s[20:21], s[14:15], s[20:21]
	s_and_b64 s[16:17], s[14:15], s[16:17]
	v_pk_fma_f32 v[34:35], v[36:37], s[30:31], v[34:35] op_sel_hi:[1,0,1]
	v_pk_fma_f32 v[36:37], v[24:25], v[40:41], 1.0 op_sel_hi:[0,1,0] neg_lo:[1,0,0] neg_hi:[1,0,0]
	v_cndmask_b32_e64 v41, 0, 1.0, s[16:17]
	v_cndmask_b32_e64 v40, 0, 1.0, s[20:21]
	v_pk_mul_f32 v[40:41], v[0:1], v[40:41] op_sel_hi:[0,1]
	v_cndmask_b32_e64 v37, v37, 1.0, s[4:5]
	v_cndmask_b32_e64 v36, v36, 1.0, vcc
	v_pk_fma_f32 v[34:35], v[36:37], v[40:41], v[34:35]
	buffer_load_dword v36, off, s[0:3], 0 offset:3832 ; 4-byte Folded Reload
	buffer_load_dword v37, off, s[0:3], 0 offset:3836 ; 4-byte Folded Reload
	;; [unrolled: 1-line block ×4, first 2 shown]
	v_pk_add_f32 v[42:43], v[62:63], v[6:7] op_sel_hi:[1,0] neg_lo:[0,1] neg_hi:[0,1]
	s_waitcnt vmcnt(2)
	v_pk_add_f32 v[36:37], v[36:37], v[4:5] op_sel_hi:[1,0] neg_lo:[0,1] neg_hi:[0,1]
	s_waitcnt vmcnt(0)
	v_pk_add_f32 v[40:41], v[40:41], v[4:5] op_sel:[0,1] neg_lo:[0,1] neg_hi:[0,1]
	v_pk_mul_f32 v[40:41], v[40:41], v[40:41]
	v_pk_fma_f32 v[36:37], v[36:37], v[36:37], v[40:41]
	v_pk_fma_f32 v[36:37], v[42:43], v[42:43], v[36:37]
	v_cmp_gt_f32_e32 vcc, s43, v37
	v_mul_f32_e32 v7, 0x4f800000, v37
	v_cndmask_b32_e32 v7, v37, v7, vcc
	v_sqrt_f32_e32 v37, v7
	v_add_u32_e32 v39, -1, v37
	v_fma_f32 v40, -v39, v37, v7
	v_cmp_ge_f32_e64 s[4:5], 0, v40
	v_add_u32_e32 v40, 1, v37
	v_cndmask_b32_e64 v39, v37, v39, s[4:5]
	v_fma_f32 v37, -v40, v37, v7
	v_cmp_lt_f32_e64 s[4:5], 0, v37
	v_cndmask_b32_e64 v37, v39, v40, s[4:5]
	v_mul_f32_e32 v39, 0x37800000, v37
	v_cndmask_b32_e32 v37, v37, v39, vcc
	v_cmp_class_f32_e32 vcc, v7, v21
	v_cndmask_b32_e32 v37, v37, v7, vcc
	v_cmp_gt_f32_e32 vcc, s43, v36
	v_mul_f32_e32 v7, 0x4f800000, v36
	v_cndmask_b32_e32 v7, v36, v7, vcc
	v_sqrt_f32_e32 v36, v7
	v_add_u32_e32 v39, -1, v36
	v_fma_f32 v40, -v39, v36, v7
	v_cmp_ge_f32_e64 s[4:5], 0, v40
	v_add_u32_e32 v40, 1, v36
	v_cndmask_b32_e64 v39, v36, v39, s[4:5]
	v_fma_f32 v36, -v40, v36, v7
	v_cmp_lt_f32_e64 s[4:5], 0, v36
	v_cndmask_b32_e64 v36, v39, v40, s[4:5]
	v_mul_f32_e32 v39, 0x37800000, v36
	v_cndmask_b32_e32 v36, v36, v39, vcc
	v_cmp_class_f32_e32 vcc, v7, v21
	v_cndmask_b32_e32 v36, v36, v7, vcc
	v_pk_add_f32 v[40:41], v[36:37], v[30:31] op_sel_hi:[1,0] neg_lo:[0,1] neg_hi:[0,1]
	v_cmp_gt_f32_e32 vcc, 0, v40
	v_cmp_gt_f32_e64 s[4:5], 0, v41
	v_pk_fma_f32 v[36:37], v[32:33], v[36:37], 1.0 op_sel_hi:[0,1,0] neg_lo:[1,0,0] neg_hi:[1,0,0]
	v_cndmask_b32_e64 v43, 0, v25, s[4:5]
	v_cndmask_b32_e32 v42, 0, v25, vcc
	v_pk_fma_f32 v[22:23], v[36:37], v[42:43], v[22:23]
	v_pk_fma_f32 v[36:37], v[20:21], v[40:41], 1.0 op_sel_hi:[0,1,0] neg_lo:[1,0,0] neg_hi:[1,0,0]
	v_cmp_lt_f32_e64 s[16:17], v40, v38
	v_cmp_lt_f32_e64 s[20:21], v41, v38
	v_cndmask_b32_e64 v37, v37, 1.0, s[4:5]
	v_cndmask_b32_e64 v36, v36, 1.0, vcc
	v_cndmask_b32_e64 v43, 0, 1.0, s[20:21]
	v_cndmask_b32_e64 v42, 0, 1.0, s[16:17]
	v_pk_mul_f32 v[36:37], v[42:43], v[36:37]
	v_pk_mul_f32 v[36:37], v[26:27], v[36:37] op_sel_hi:[0,1]
	v_cmp_lt_f32_e64 s[16:17], v41, v33
	v_cmp_lt_f32_e64 s[20:21], v40, v33
	v_cndmask_b32_e64 v37, v37, -|v37|, s[36:37]
	v_cndmask_b32_e64 v36, v36, -|v36|, s[36:37]
	s_and_b64 s[20:21], s[14:15], s[20:21]
	s_and_b64 s[16:17], s[14:15], s[16:17]
	v_pk_fma_f32 v[22:23], v[36:37], s[30:31], v[22:23] op_sel_hi:[1,0,1]
	v_pk_fma_f32 v[36:37], v[24:25], v[40:41], 1.0 op_sel_hi:[0,1,0] neg_lo:[1,0,0] neg_hi:[1,0,0]
	v_cndmask_b32_e64 v41, 0, 1.0, s[16:17]
	v_cndmask_b32_e64 v40, 0, 1.0, s[20:21]
	v_pk_mul_f32 v[40:41], v[0:1], v[40:41] op_sel_hi:[0,1]
	v_cndmask_b32_e64 v37, v37, 1.0, s[4:5]
	v_cndmask_b32_e64 v36, v36, 1.0, vcc
	v_pk_fma_f32 v[22:23], v[36:37], v[40:41], v[22:23]
	buffer_load_dword v36, off, s[0:3], 0 offset:3848 ; 4-byte Folded Reload
	buffer_load_dword v37, off, s[0:3], 0 offset:3852 ; 4-byte Folded Reload
	;; [unrolled: 1-line block ×4, first 2 shown]
	v_pk_add_f32 v[42:43], v[64:65], v[6:7] op_sel_hi:[1,0] neg_lo:[0,1] neg_hi:[0,1]
	s_waitcnt vmcnt(2)
	v_pk_add_f32 v[36:37], v[36:37], v[4:5] op_sel_hi:[1,0] neg_lo:[0,1] neg_hi:[0,1]
	s_waitcnt vmcnt(0)
	v_pk_add_f32 v[40:41], v[40:41], v[4:5] op_sel:[0,1] neg_lo:[0,1] neg_hi:[0,1]
	v_pk_mul_f32 v[40:41], v[40:41], v[40:41]
	v_pk_fma_f32 v[36:37], v[36:37], v[36:37], v[40:41]
	v_pk_fma_f32 v[36:37], v[42:43], v[42:43], v[36:37]
	v_cmp_gt_f32_e32 vcc, s43, v37
	v_mul_f32_e32 v7, 0x4f800000, v37
	v_cndmask_b32_e32 v7, v37, v7, vcc
	v_sqrt_f32_e32 v37, v7
	v_add_u32_e32 v39, -1, v37
	v_fma_f32 v40, -v39, v37, v7
	v_cmp_ge_f32_e64 s[4:5], 0, v40
	v_add_u32_e32 v40, 1, v37
	v_cndmask_b32_e64 v39, v37, v39, s[4:5]
	v_fma_f32 v37, -v40, v37, v7
	v_cmp_lt_f32_e64 s[4:5], 0, v37
	v_cndmask_b32_e64 v37, v39, v40, s[4:5]
	v_mul_f32_e32 v39, 0x37800000, v37
	v_cndmask_b32_e32 v37, v37, v39, vcc
	v_cmp_class_f32_e32 vcc, v7, v21
	v_cndmask_b32_e32 v37, v37, v7, vcc
	v_cmp_gt_f32_e32 vcc, s43, v36
	v_mul_f32_e32 v7, 0x4f800000, v36
	v_cndmask_b32_e32 v7, v36, v7, vcc
	v_sqrt_f32_e32 v36, v7
	v_add_u32_e32 v39, -1, v36
	v_fma_f32 v40, -v39, v36, v7
	v_cmp_ge_f32_e64 s[4:5], 0, v40
	v_add_u32_e32 v40, 1, v36
	v_cndmask_b32_e64 v39, v36, v39, s[4:5]
	v_fma_f32 v36, -v40, v36, v7
	v_cmp_lt_f32_e64 s[4:5], 0, v36
	v_cndmask_b32_e64 v36, v39, v40, s[4:5]
	v_mul_f32_e32 v39, 0x37800000, v36
	v_cndmask_b32_e32 v36, v36, v39, vcc
	v_cmp_class_f32_e32 vcc, v7, v21
	v_cndmask_b32_e32 v36, v36, v7, vcc
	v_pk_add_f32 v[40:41], v[36:37], v[30:31] op_sel_hi:[1,0] neg_lo:[0,1] neg_hi:[0,1]
	v_cmp_gt_f32_e32 vcc, 0, v40
	v_cmp_gt_f32_e64 s[4:5], 0, v41
	v_pk_fma_f32 v[36:37], v[32:33], v[36:37], 1.0 op_sel_hi:[0,1,0] neg_lo:[1,0,0] neg_hi:[1,0,0]
	v_cndmask_b32_e64 v43, 0, v25, s[4:5]
	v_cndmask_b32_e32 v42, 0, v25, vcc
	v_pk_fma_f32 v[10:11], v[36:37], v[42:43], v[10:11]
	v_pk_fma_f32 v[36:37], v[20:21], v[40:41], 1.0 op_sel_hi:[0,1,0] neg_lo:[1,0,0] neg_hi:[1,0,0]
	v_cmp_lt_f32_e64 s[16:17], v40, v38
	v_cmp_lt_f32_e64 s[20:21], v41, v38
	v_cndmask_b32_e64 v37, v37, 1.0, s[4:5]
	v_cndmask_b32_e64 v36, v36, 1.0, vcc
	v_cndmask_b32_e64 v43, 0, 1.0, s[20:21]
	v_cndmask_b32_e64 v42, 0, 1.0, s[16:17]
	v_pk_mul_f32 v[36:37], v[42:43], v[36:37]
	v_pk_mul_f32 v[36:37], v[26:27], v[36:37] op_sel_hi:[0,1]
	v_cmp_lt_f32_e64 s[16:17], v41, v33
	v_cmp_lt_f32_e64 s[20:21], v40, v33
	v_cndmask_b32_e64 v37, v37, -|v37|, s[36:37]
	v_cndmask_b32_e64 v36, v36, -|v36|, s[36:37]
	s_and_b64 s[20:21], s[14:15], s[20:21]
	s_and_b64 s[16:17], s[14:15], s[16:17]
	v_pk_fma_f32 v[10:11], v[36:37], s[30:31], v[10:11] op_sel_hi:[1,0,1]
	v_pk_fma_f32 v[36:37], v[24:25], v[40:41], 1.0 op_sel_hi:[0,1,0] neg_lo:[1,0,0] neg_hi:[1,0,0]
	v_cndmask_b32_e64 v41, 0, 1.0, s[16:17]
	v_cndmask_b32_e64 v40, 0, 1.0, s[20:21]
	v_pk_mul_f32 v[40:41], v[0:1], v[40:41] op_sel_hi:[0,1]
	v_cndmask_b32_e64 v37, v37, 1.0, s[4:5]
	v_cndmask_b32_e64 v36, v36, 1.0, vcc
	v_pk_fma_f32 v[10:11], v[36:37], v[40:41], v[10:11]
	buffer_load_dword v36, off, s[0:3], 0 offset:3864 ; 4-byte Folded Reload
	buffer_load_dword v37, off, s[0:3], 0 offset:3868 ; 4-byte Folded Reload
	;; [unrolled: 1-line block ×4, first 2 shown]
	v_pk_add_f32 v[42:43], v[66:67], v[6:7] op_sel_hi:[1,0] neg_lo:[0,1] neg_hi:[0,1]
	s_waitcnt vmcnt(2)
	v_pk_add_f32 v[36:37], v[36:37], v[4:5] op_sel_hi:[1,0] neg_lo:[0,1] neg_hi:[0,1]
	s_waitcnt vmcnt(0)
	v_pk_add_f32 v[40:41], v[40:41], v[4:5] op_sel:[0,1] neg_lo:[0,1] neg_hi:[0,1]
	v_pk_mul_f32 v[40:41], v[40:41], v[40:41]
	v_pk_fma_f32 v[36:37], v[36:37], v[36:37], v[40:41]
	v_pk_fma_f32 v[36:37], v[42:43], v[42:43], v[36:37]
	v_cmp_gt_f32_e32 vcc, s43, v37
	v_mul_f32_e32 v7, 0x4f800000, v37
	v_cndmask_b32_e32 v7, v37, v7, vcc
	v_sqrt_f32_e32 v37, v7
	v_add_u32_e32 v39, -1, v37
	v_fma_f32 v40, -v39, v37, v7
	v_cmp_ge_f32_e64 s[4:5], 0, v40
	v_add_u32_e32 v40, 1, v37
	v_cndmask_b32_e64 v39, v37, v39, s[4:5]
	v_fma_f32 v37, -v40, v37, v7
	v_cmp_lt_f32_e64 s[4:5], 0, v37
	v_cndmask_b32_e64 v37, v39, v40, s[4:5]
	v_mul_f32_e32 v39, 0x37800000, v37
	v_cndmask_b32_e32 v37, v37, v39, vcc
	v_cmp_class_f32_e32 vcc, v7, v21
	v_cndmask_b32_e32 v37, v37, v7, vcc
	v_cmp_gt_f32_e32 vcc, s43, v36
	v_mul_f32_e32 v7, 0x4f800000, v36
	v_cndmask_b32_e32 v7, v36, v7, vcc
	v_sqrt_f32_e32 v36, v7
	v_add_u32_e32 v39, -1, v36
	v_fma_f32 v40, -v39, v36, v7
	v_cmp_ge_f32_e64 s[4:5], 0, v40
	v_add_u32_e32 v40, 1, v36
	v_cndmask_b32_e64 v39, v36, v39, s[4:5]
	v_fma_f32 v36, -v40, v36, v7
	v_cmp_lt_f32_e64 s[4:5], 0, v36
	v_cndmask_b32_e64 v36, v39, v40, s[4:5]
	v_mul_f32_e32 v39, 0x37800000, v36
	v_cndmask_b32_e32 v36, v36, v39, vcc
	v_cmp_class_f32_e32 vcc, v7, v21
	v_cndmask_b32_e32 v36, v36, v7, vcc
	v_pk_add_f32 v[40:41], v[36:37], v[30:31] op_sel_hi:[1,0] neg_lo:[0,1] neg_hi:[0,1]
	v_cmp_gt_f32_e32 vcc, 0, v40
	v_cmp_gt_f32_e64 s[4:5], 0, v41
	v_pk_fma_f32 v[36:37], v[32:33], v[36:37], 1.0 op_sel_hi:[0,1,0] neg_lo:[1,0,0] neg_hi:[1,0,0]
	v_cndmask_b32_e64 v43, 0, v25, s[4:5]
	v_cndmask_b32_e32 v42, 0, v25, vcc
	v_pk_fma_f32 v[36:37], v[36:37], v[42:43], v[106:107]
	v_pk_fma_f32 v[42:43], v[20:21], v[40:41], 1.0 op_sel_hi:[0,1,0] neg_lo:[1,0,0] neg_hi:[1,0,0]
	v_cmp_lt_f32_e64 s[16:17], v40, v38
	v_cmp_lt_f32_e64 s[20:21], v41, v38
	v_cndmask_b32_e64 v43, v43, 1.0, s[4:5]
	v_cndmask_b32_e64 v42, v42, 1.0, vcc
	v_cndmask_b32_e64 v107, 0, 1.0, s[20:21]
	v_cndmask_b32_e64 v106, 0, 1.0, s[16:17]
	v_pk_mul_f32 v[42:43], v[106:107], v[42:43]
	v_pk_mul_f32 v[42:43], v[26:27], v[42:43] op_sel_hi:[0,1]
	v_cmp_lt_f32_e64 s[16:17], v41, v33
	v_cmp_lt_f32_e64 s[20:21], v40, v33
	v_cndmask_b32_e64 v43, v43, -|v43|, s[36:37]
	v_cndmask_b32_e64 v42, v42, -|v42|, s[36:37]
	s_and_b64 s[20:21], s[14:15], s[20:21]
	s_and_b64 s[16:17], s[14:15], s[16:17]
	v_pk_fma_f32 v[36:37], v[42:43], s[30:31], v[36:37] op_sel_hi:[1,0,1]
	v_pk_fma_f32 v[42:43], v[24:25], v[40:41], 1.0 op_sel_hi:[0,1,0] neg_lo:[1,0,0] neg_hi:[1,0,0]
	v_cndmask_b32_e64 v41, 0, 1.0, s[16:17]
	v_cndmask_b32_e64 v40, 0, 1.0, s[20:21]
	v_pk_mul_f32 v[40:41], v[0:1], v[40:41] op_sel_hi:[0,1]
	v_cndmask_b32_e64 v43, v43, 1.0, s[4:5]
	v_cndmask_b32_e64 v42, v42, 1.0, vcc
	v_pk_fma_f32 v[106:107], v[42:43], v[40:41], v[36:37]
	buffer_load_dword v36, off, s[0:3], 0 offset:3880 ; 4-byte Folded Reload
	buffer_load_dword v37, off, s[0:3], 0 offset:3884 ; 4-byte Folded Reload
	;; [unrolled: 1-line block ×4, first 2 shown]
	v_pk_add_f32 v[42:43], v[68:69], v[6:7] op_sel_hi:[1,0] neg_lo:[0,1] neg_hi:[0,1]
	s_waitcnt vmcnt(2)
	v_pk_add_f32 v[36:37], v[36:37], v[4:5] op_sel_hi:[1,0] neg_lo:[0,1] neg_hi:[0,1]
	s_waitcnt vmcnt(0)
	v_pk_add_f32 v[40:41], v[40:41], v[4:5] op_sel:[0,1] neg_lo:[0,1] neg_hi:[0,1]
	v_pk_mul_f32 v[40:41], v[40:41], v[40:41]
	v_pk_fma_f32 v[36:37], v[36:37], v[36:37], v[40:41]
	v_pk_fma_f32 v[36:37], v[42:43], v[42:43], v[36:37]
	v_cmp_gt_f32_e32 vcc, s43, v37
	v_mul_f32_e32 v7, 0x4f800000, v37
	v_cndmask_b32_e32 v7, v37, v7, vcc
	v_sqrt_f32_e32 v37, v7
	v_add_u32_e32 v39, -1, v37
	v_fma_f32 v40, -v39, v37, v7
	v_cmp_ge_f32_e64 s[4:5], 0, v40
	v_add_u32_e32 v40, 1, v37
	v_cndmask_b32_e64 v39, v37, v39, s[4:5]
	v_fma_f32 v37, -v40, v37, v7
	v_cmp_lt_f32_e64 s[4:5], 0, v37
	v_cndmask_b32_e64 v37, v39, v40, s[4:5]
	v_mul_f32_e32 v39, 0x37800000, v37
	v_cndmask_b32_e32 v37, v37, v39, vcc
	v_cmp_class_f32_e32 vcc, v7, v21
	v_cndmask_b32_e32 v37, v37, v7, vcc
	v_cmp_gt_f32_e32 vcc, s43, v36
	v_mul_f32_e32 v7, 0x4f800000, v36
	v_cndmask_b32_e32 v7, v36, v7, vcc
	v_sqrt_f32_e32 v36, v7
	v_add_u32_e32 v39, -1, v36
	v_fma_f32 v40, -v39, v36, v7
	v_cmp_ge_f32_e64 s[4:5], 0, v40
	v_add_u32_e32 v40, 1, v36
	v_cndmask_b32_e64 v39, v36, v39, s[4:5]
	v_fma_f32 v36, -v40, v36, v7
	v_cmp_lt_f32_e64 s[4:5], 0, v36
	v_cndmask_b32_e64 v36, v39, v40, s[4:5]
	v_mul_f32_e32 v39, 0x37800000, v36
	v_cndmask_b32_e32 v36, v36, v39, vcc
	v_cmp_class_f32_e32 vcc, v7, v21
	v_cndmask_b32_e32 v36, v36, v7, vcc
	v_pk_add_f32 v[40:41], v[36:37], v[30:31] op_sel_hi:[1,0] neg_lo:[0,1] neg_hi:[0,1]
	v_cmp_gt_f32_e32 vcc, 0, v40
	v_cmp_gt_f32_e64 s[4:5], 0, v41
	v_pk_fma_f32 v[36:37], v[32:33], v[36:37], 1.0 op_sel_hi:[0,1,0] neg_lo:[1,0,0] neg_hi:[1,0,0]
	v_cndmask_b32_e64 v43, 0, v25, s[4:5]
	v_cndmask_b32_e32 v42, 0, v25, vcc
	v_pk_fma_f32 v[36:37], v[36:37], v[42:43], v[96:97]
	v_pk_fma_f32 v[42:43], v[20:21], v[40:41], 1.0 op_sel_hi:[0,1,0] neg_lo:[1,0,0] neg_hi:[1,0,0]
	v_cmp_lt_f32_e64 s[16:17], v40, v38
	v_cmp_lt_f32_e64 s[20:21], v41, v38
	v_cndmask_b32_e64 v43, v43, 1.0, s[4:5]
	v_cndmask_b32_e64 v42, v42, 1.0, vcc
	v_cndmask_b32_e64 v97, 0, 1.0, s[20:21]
	v_cndmask_b32_e64 v96, 0, 1.0, s[16:17]
	v_pk_mul_f32 v[42:43], v[96:97], v[42:43]
	v_pk_mul_f32 v[42:43], v[26:27], v[42:43] op_sel_hi:[0,1]
	v_cmp_lt_f32_e64 s[16:17], v41, v33
	v_cmp_lt_f32_e64 s[20:21], v40, v33
	v_cndmask_b32_e64 v43, v43, -|v43|, s[36:37]
	v_cndmask_b32_e64 v42, v42, -|v42|, s[36:37]
	s_and_b64 s[20:21], s[14:15], s[20:21]
	s_and_b64 s[16:17], s[14:15], s[16:17]
	v_pk_fma_f32 v[36:37], v[42:43], s[30:31], v[36:37] op_sel_hi:[1,0,1]
	v_pk_fma_f32 v[42:43], v[24:25], v[40:41], 1.0 op_sel_hi:[0,1,0] neg_lo:[1,0,0] neg_hi:[1,0,0]
	v_cndmask_b32_e64 v41, 0, 1.0, s[16:17]
	v_cndmask_b32_e64 v40, 0, 1.0, s[20:21]
	v_pk_mul_f32 v[40:41], v[0:1], v[40:41] op_sel_hi:[0,1]
	v_cndmask_b32_e64 v43, v43, 1.0, s[4:5]
	v_cndmask_b32_e64 v42, v42, 1.0, vcc
	v_pk_fma_f32 v[96:97], v[42:43], v[40:41], v[36:37]
	buffer_load_dword v36, off, s[0:3], 0 offset:3896 ; 4-byte Folded Reload
	buffer_load_dword v37, off, s[0:3], 0 offset:3900 ; 4-byte Folded Reload
	;; [unrolled: 1-line block ×4, first 2 shown]
	v_pk_add_f32 v[42:43], v[70:71], v[6:7] op_sel_hi:[1,0] neg_lo:[0,1] neg_hi:[0,1]
	s_waitcnt vmcnt(2)
	v_pk_add_f32 v[36:37], v[36:37], v[4:5] op_sel_hi:[1,0] neg_lo:[0,1] neg_hi:[0,1]
	s_waitcnt vmcnt(0)
	v_pk_add_f32 v[40:41], v[40:41], v[4:5] op_sel:[0,1] neg_lo:[0,1] neg_hi:[0,1]
	v_pk_mul_f32 v[40:41], v[40:41], v[40:41]
	v_pk_fma_f32 v[36:37], v[36:37], v[36:37], v[40:41]
	v_pk_fma_f32 v[36:37], v[42:43], v[42:43], v[36:37]
	v_cmp_gt_f32_e32 vcc, s43, v37
	v_mul_f32_e32 v7, 0x4f800000, v37
	v_cndmask_b32_e32 v7, v37, v7, vcc
	v_sqrt_f32_e32 v37, v7
	v_add_u32_e32 v39, -1, v37
	v_fma_f32 v40, -v39, v37, v7
	v_cmp_ge_f32_e64 s[4:5], 0, v40
	v_add_u32_e32 v40, 1, v37
	v_cndmask_b32_e64 v39, v37, v39, s[4:5]
	v_fma_f32 v37, -v40, v37, v7
	v_cmp_lt_f32_e64 s[4:5], 0, v37
	v_cndmask_b32_e64 v37, v39, v40, s[4:5]
	v_mul_f32_e32 v39, 0x37800000, v37
	v_cndmask_b32_e32 v37, v37, v39, vcc
	v_cmp_class_f32_e32 vcc, v7, v21
	v_cndmask_b32_e32 v37, v37, v7, vcc
	v_cmp_gt_f32_e32 vcc, s43, v36
	v_mul_f32_e32 v7, 0x4f800000, v36
	v_cndmask_b32_e32 v7, v36, v7, vcc
	v_sqrt_f32_e32 v36, v7
	v_add_u32_e32 v39, -1, v36
	v_fma_f32 v40, -v39, v36, v7
	v_cmp_ge_f32_e64 s[4:5], 0, v40
	v_add_u32_e32 v40, 1, v36
	v_cndmask_b32_e64 v39, v36, v39, s[4:5]
	v_fma_f32 v36, -v40, v36, v7
	v_cmp_lt_f32_e64 s[4:5], 0, v36
	v_cndmask_b32_e64 v36, v39, v40, s[4:5]
	v_mul_f32_e32 v39, 0x37800000, v36
	v_cndmask_b32_e32 v36, v36, v39, vcc
	v_cmp_class_f32_e32 vcc, v7, v21
	v_cndmask_b32_e32 v36, v36, v7, vcc
	v_pk_add_f32 v[40:41], v[36:37], v[30:31] op_sel_hi:[1,0] neg_lo:[0,1] neg_hi:[0,1]
	v_cmp_gt_f32_e32 vcc, 0, v40
	v_cmp_gt_f32_e64 s[4:5], 0, v41
	v_pk_fma_f32 v[36:37], v[32:33], v[36:37], 1.0 op_sel_hi:[0,1,0] neg_lo:[1,0,0] neg_hi:[1,0,0]
	v_cndmask_b32_e64 v43, 0, v25, s[4:5]
	v_cndmask_b32_e32 v42, 0, v25, vcc
	v_pk_fma_f32 v[36:37], v[36:37], v[42:43], v[84:85]
	v_pk_fma_f32 v[42:43], v[20:21], v[40:41], 1.0 op_sel_hi:[0,1,0] neg_lo:[1,0,0] neg_hi:[1,0,0]
	v_cmp_lt_f32_e64 s[16:17], v40, v38
	v_cmp_lt_f32_e64 s[20:21], v41, v38
	v_cndmask_b32_e64 v43, v43, 1.0, s[4:5]
	v_cndmask_b32_e64 v42, v42, 1.0, vcc
	v_cndmask_b32_e64 v85, 0, 1.0, s[20:21]
	v_cndmask_b32_e64 v84, 0, 1.0, s[16:17]
	v_pk_mul_f32 v[42:43], v[84:85], v[42:43]
	v_pk_mul_f32 v[42:43], v[26:27], v[42:43] op_sel_hi:[0,1]
	v_cmp_lt_f32_e64 s[16:17], v41, v33
	v_cmp_lt_f32_e64 s[20:21], v40, v33
	v_cndmask_b32_e64 v43, v43, -|v43|, s[36:37]
	v_cndmask_b32_e64 v42, v42, -|v42|, s[36:37]
	s_and_b64 s[20:21], s[14:15], s[20:21]
	s_and_b64 s[16:17], s[14:15], s[16:17]
	v_pk_fma_f32 v[36:37], v[42:43], s[30:31], v[36:37] op_sel_hi:[1,0,1]
	v_pk_fma_f32 v[42:43], v[24:25], v[40:41], 1.0 op_sel_hi:[0,1,0] neg_lo:[1,0,0] neg_hi:[1,0,0]
	v_cndmask_b32_e64 v41, 0, 1.0, s[16:17]
	v_cndmask_b32_e64 v40, 0, 1.0, s[20:21]
	v_pk_mul_f32 v[40:41], v[0:1], v[40:41] op_sel_hi:[0,1]
	v_cndmask_b32_e64 v43, v43, 1.0, s[4:5]
	v_cndmask_b32_e64 v42, v42, 1.0, vcc
	v_pk_fma_f32 v[84:85], v[42:43], v[40:41], v[36:37]
	buffer_load_dword v36, off, s[0:3], 0 offset:3912 ; 4-byte Folded Reload
	buffer_load_dword v37, off, s[0:3], 0 offset:3916 ; 4-byte Folded Reload
	;; [unrolled: 1-line block ×4, first 2 shown]
	v_pk_add_f32 v[42:43], v[74:75], v[6:7] op_sel_hi:[1,0] neg_lo:[0,1] neg_hi:[0,1]
	s_waitcnt vmcnt(2)
	v_pk_add_f32 v[36:37], v[36:37], v[4:5] op_sel_hi:[1,0] neg_lo:[0,1] neg_hi:[0,1]
	s_waitcnt vmcnt(0)
	v_pk_add_f32 v[40:41], v[40:41], v[4:5] op_sel:[0,1] neg_lo:[0,1] neg_hi:[0,1]
	v_pk_mul_f32 v[40:41], v[40:41], v[40:41]
	v_pk_fma_f32 v[36:37], v[36:37], v[36:37], v[40:41]
	v_pk_fma_f32 v[36:37], v[42:43], v[42:43], v[36:37]
	v_cmp_gt_f32_e32 vcc, s43, v37
	v_mul_f32_e32 v7, 0x4f800000, v37
	v_cndmask_b32_e32 v7, v37, v7, vcc
	v_sqrt_f32_e32 v37, v7
	v_add_u32_e32 v39, -1, v37
	v_fma_f32 v40, -v39, v37, v7
	v_cmp_ge_f32_e64 s[4:5], 0, v40
	v_add_u32_e32 v40, 1, v37
	v_cndmask_b32_e64 v39, v37, v39, s[4:5]
	v_fma_f32 v37, -v40, v37, v7
	v_cmp_lt_f32_e64 s[4:5], 0, v37
	v_cndmask_b32_e64 v37, v39, v40, s[4:5]
	v_mul_f32_e32 v39, 0x37800000, v37
	v_cndmask_b32_e32 v37, v37, v39, vcc
	v_cmp_class_f32_e32 vcc, v7, v21
	v_cndmask_b32_e32 v37, v37, v7, vcc
	v_cmp_gt_f32_e32 vcc, s43, v36
	v_mul_f32_e32 v7, 0x4f800000, v36
	v_cndmask_b32_e32 v7, v36, v7, vcc
	v_sqrt_f32_e32 v36, v7
	v_add_u32_e32 v39, -1, v36
	v_fma_f32 v40, -v39, v36, v7
	v_cmp_ge_f32_e64 s[4:5], 0, v40
	v_add_u32_e32 v40, 1, v36
	v_cndmask_b32_e64 v39, v36, v39, s[4:5]
	v_fma_f32 v36, -v40, v36, v7
	v_cmp_lt_f32_e64 s[4:5], 0, v36
	v_cndmask_b32_e64 v36, v39, v40, s[4:5]
	v_mul_f32_e32 v39, 0x37800000, v36
	v_cndmask_b32_e32 v36, v36, v39, vcc
	v_cmp_class_f32_e32 vcc, v7, v21
	v_cndmask_b32_e32 v36, v36, v7, vcc
	v_pk_add_f32 v[40:41], v[36:37], v[30:31] op_sel_hi:[1,0] neg_lo:[0,1] neg_hi:[0,1]
	v_cmp_gt_f32_e32 vcc, 0, v40
	v_cmp_gt_f32_e64 s[4:5], 0, v41
	v_pk_fma_f32 v[36:37], v[32:33], v[36:37], 1.0 op_sel_hi:[0,1,0] neg_lo:[1,0,0] neg_hi:[1,0,0]
	v_cndmask_b32_e64 v43, 0, v25, s[4:5]
	v_cndmask_b32_e32 v42, 0, v25, vcc
	v_pk_fma_f32 v[36:37], v[36:37], v[42:43], v[72:73]
	v_pk_fma_f32 v[42:43], v[20:21], v[40:41], 1.0 op_sel_hi:[0,1,0] neg_lo:[1,0,0] neg_hi:[1,0,0]
	v_cmp_lt_f32_e64 s[16:17], v40, v38
	v_cmp_lt_f32_e64 s[20:21], v41, v38
	v_cndmask_b32_e64 v43, v43, 1.0, s[4:5]
	v_cndmask_b32_e64 v42, v42, 1.0, vcc
	v_cndmask_b32_e64 v73, 0, 1.0, s[20:21]
	v_cndmask_b32_e64 v72, 0, 1.0, s[16:17]
	v_pk_mul_f32 v[42:43], v[72:73], v[42:43]
	v_pk_mul_f32 v[42:43], v[26:27], v[42:43] op_sel_hi:[0,1]
	v_cmp_lt_f32_e64 s[16:17], v41, v33
	v_cmp_lt_f32_e64 s[20:21], v40, v33
	v_cndmask_b32_e64 v43, v43, -|v43|, s[36:37]
	v_cndmask_b32_e64 v42, v42, -|v42|, s[36:37]
	s_and_b64 s[20:21], s[14:15], s[20:21]
	s_and_b64 s[16:17], s[14:15], s[16:17]
	v_pk_fma_f32 v[36:37], v[42:43], s[30:31], v[36:37] op_sel_hi:[1,0,1]
	v_pk_fma_f32 v[42:43], v[24:25], v[40:41], 1.0 op_sel_hi:[0,1,0] neg_lo:[1,0,0] neg_hi:[1,0,0]
	v_cndmask_b32_e64 v41, 0, 1.0, s[16:17]
	v_cndmask_b32_e64 v40, 0, 1.0, s[20:21]
	v_pk_mul_f32 v[40:41], v[0:1], v[40:41] op_sel_hi:[0,1]
	v_cndmask_b32_e64 v43, v43, 1.0, s[4:5]
	v_cndmask_b32_e64 v42, v42, 1.0, vcc
	v_pk_fma_f32 v[72:73], v[42:43], v[40:41], v[36:37]
	buffer_load_dword v36, off, s[0:3], 0 offset:3928 ; 4-byte Folded Reload
	buffer_load_dword v37, off, s[0:3], 0 offset:3932 ; 4-byte Folded Reload
	;; [unrolled: 1-line block ×4, first 2 shown]
	v_pk_add_f32 v[42:43], v[76:77], v[6:7] op_sel_hi:[1,0] neg_lo:[0,1] neg_hi:[0,1]
	s_waitcnt vmcnt(2)
	v_pk_add_f32 v[36:37], v[36:37], v[4:5] op_sel_hi:[1,0] neg_lo:[0,1] neg_hi:[0,1]
	s_waitcnt vmcnt(0)
	v_pk_add_f32 v[40:41], v[40:41], v[4:5] op_sel:[0,1] neg_lo:[0,1] neg_hi:[0,1]
	v_pk_mul_f32 v[40:41], v[40:41], v[40:41]
	v_pk_fma_f32 v[36:37], v[36:37], v[36:37], v[40:41]
	v_pk_fma_f32 v[36:37], v[42:43], v[42:43], v[36:37]
	v_cmp_gt_f32_e32 vcc, s43, v37
	v_mul_f32_e32 v7, 0x4f800000, v37
	v_cndmask_b32_e32 v7, v37, v7, vcc
	v_sqrt_f32_e32 v37, v7
	v_add_u32_e32 v39, -1, v37
	v_fma_f32 v40, -v39, v37, v7
	v_cmp_ge_f32_e64 s[4:5], 0, v40
	v_add_u32_e32 v40, 1, v37
	v_cndmask_b32_e64 v39, v37, v39, s[4:5]
	v_fma_f32 v37, -v40, v37, v7
	v_cmp_lt_f32_e64 s[4:5], 0, v37
	v_cndmask_b32_e64 v37, v39, v40, s[4:5]
	v_mul_f32_e32 v39, 0x37800000, v37
	v_cndmask_b32_e32 v37, v37, v39, vcc
	v_cmp_class_f32_e32 vcc, v7, v21
	v_cndmask_b32_e32 v37, v37, v7, vcc
	v_cmp_gt_f32_e32 vcc, s43, v36
	v_mul_f32_e32 v7, 0x4f800000, v36
	v_cndmask_b32_e32 v7, v36, v7, vcc
	v_sqrt_f32_e32 v36, v7
	v_add_u32_e32 v39, -1, v36
	v_fma_f32 v40, -v39, v36, v7
	v_cmp_ge_f32_e64 s[4:5], 0, v40
	v_add_u32_e32 v40, 1, v36
	v_cndmask_b32_e64 v39, v36, v39, s[4:5]
	v_fma_f32 v36, -v40, v36, v7
	v_cmp_lt_f32_e64 s[4:5], 0, v36
	v_cndmask_b32_e64 v36, v39, v40, s[4:5]
	v_mul_f32_e32 v39, 0x37800000, v36
	v_cndmask_b32_e32 v36, v36, v39, vcc
	v_cmp_class_f32_e32 vcc, v7, v21
	v_cndmask_b32_e32 v36, v36, v7, vcc
	v_pk_add_f32 v[40:41], v[36:37], v[30:31] op_sel_hi:[1,0] neg_lo:[0,1] neg_hi:[0,1]
	v_cmp_gt_f32_e32 vcc, 0, v40
	v_cmp_gt_f32_e64 s[4:5], 0, v41
	v_pk_fma_f32 v[36:37], v[32:33], v[36:37], 1.0 op_sel_hi:[0,1,0] neg_lo:[1,0,0] neg_hi:[1,0,0]
	v_cndmask_b32_e64 v43, 0, v25, s[4:5]
	v_cndmask_b32_e32 v42, 0, v25, vcc
	v_pk_fma_f32 v[36:37], v[36:37], v[42:43], v[124:125]
	v_pk_fma_f32 v[42:43], v[20:21], v[40:41], 1.0 op_sel_hi:[0,1,0] neg_lo:[1,0,0] neg_hi:[1,0,0]
	v_cmp_lt_f32_e64 s[16:17], v40, v38
	v_cmp_lt_f32_e64 s[20:21], v41, v38
	v_cndmask_b32_e64 v43, v43, 1.0, s[4:5]
	v_cndmask_b32_e64 v42, v42, 1.0, vcc
	v_cndmask_b32_e64 v125, 0, 1.0, s[20:21]
	v_cndmask_b32_e64 v124, 0, 1.0, s[16:17]
	v_pk_mul_f32 v[42:43], v[124:125], v[42:43]
	v_pk_mul_f32 v[42:43], v[26:27], v[42:43] op_sel_hi:[0,1]
	v_cmp_lt_f32_e64 s[16:17], v41, v33
	v_cmp_lt_f32_e64 s[20:21], v40, v33
	v_cndmask_b32_e64 v43, v43, -|v43|, s[36:37]
	v_cndmask_b32_e64 v42, v42, -|v42|, s[36:37]
	s_and_b64 s[20:21], s[14:15], s[20:21]
	s_and_b64 s[16:17], s[14:15], s[16:17]
	v_pk_fma_f32 v[36:37], v[42:43], s[30:31], v[36:37] op_sel_hi:[1,0,1]
	v_pk_fma_f32 v[42:43], v[24:25], v[40:41], 1.0 op_sel_hi:[0,1,0] neg_lo:[1,0,0] neg_hi:[1,0,0]
	v_cndmask_b32_e64 v41, 0, 1.0, s[16:17]
	v_cndmask_b32_e64 v40, 0, 1.0, s[20:21]
	v_pk_mul_f32 v[40:41], v[0:1], v[40:41] op_sel_hi:[0,1]
	v_cndmask_b32_e64 v43, v43, 1.0, s[4:5]
	v_cndmask_b32_e64 v42, v42, 1.0, vcc
	v_pk_fma_f32 v[124:125], v[42:43], v[40:41], v[36:37]
	buffer_load_dword v36, off, s[0:3], 0 offset:3944 ; 4-byte Folded Reload
	buffer_load_dword v37, off, s[0:3], 0 offset:3948 ; 4-byte Folded Reload
	buffer_load_dword v40, off, s[0:3], 0 offset:3952 ; 4-byte Folded Reload
	buffer_load_dword v41, off, s[0:3], 0 offset:3956 ; 4-byte Folded Reload
	v_pk_add_f32 v[42:43], v[78:79], v[6:7] op_sel_hi:[1,0] neg_lo:[0,1] neg_hi:[0,1]
	s_waitcnt vmcnt(2)
	v_pk_add_f32 v[36:37], v[36:37], v[4:5] op_sel_hi:[1,0] neg_lo:[0,1] neg_hi:[0,1]
	s_waitcnt vmcnt(0)
	v_pk_add_f32 v[40:41], v[40:41], v[4:5] op_sel:[0,1] neg_lo:[0,1] neg_hi:[0,1]
	v_pk_mul_f32 v[40:41], v[40:41], v[40:41]
	v_pk_fma_f32 v[36:37], v[36:37], v[36:37], v[40:41]
	v_pk_fma_f32 v[36:37], v[42:43], v[42:43], v[36:37]
	v_cmp_gt_f32_e32 vcc, s43, v37
	v_mul_f32_e32 v7, 0x4f800000, v37
	v_cndmask_b32_e32 v7, v37, v7, vcc
	v_sqrt_f32_e32 v37, v7
	v_add_u32_e32 v39, -1, v37
	v_fma_f32 v40, -v39, v37, v7
	v_cmp_ge_f32_e64 s[4:5], 0, v40
	v_add_u32_e32 v40, 1, v37
	v_cndmask_b32_e64 v39, v37, v39, s[4:5]
	v_fma_f32 v37, -v40, v37, v7
	v_cmp_lt_f32_e64 s[4:5], 0, v37
	v_cndmask_b32_e64 v37, v39, v40, s[4:5]
	v_mul_f32_e32 v39, 0x37800000, v37
	v_cndmask_b32_e32 v37, v37, v39, vcc
	v_cmp_class_f32_e32 vcc, v7, v21
	v_cndmask_b32_e32 v37, v37, v7, vcc
	v_cmp_gt_f32_e32 vcc, s43, v36
	v_mul_f32_e32 v7, 0x4f800000, v36
	v_cndmask_b32_e32 v7, v36, v7, vcc
	v_sqrt_f32_e32 v36, v7
	v_add_u32_e32 v39, -1, v36
	v_fma_f32 v40, -v39, v36, v7
	v_cmp_ge_f32_e64 s[4:5], 0, v40
	v_add_u32_e32 v40, 1, v36
	v_cndmask_b32_e64 v39, v36, v39, s[4:5]
	v_fma_f32 v36, -v40, v36, v7
	v_cmp_lt_f32_e64 s[4:5], 0, v36
	v_cndmask_b32_e64 v36, v39, v40, s[4:5]
	v_mul_f32_e32 v39, 0x37800000, v36
	v_cndmask_b32_e32 v36, v36, v39, vcc
	v_cmp_class_f32_e32 vcc, v7, v21
	v_cndmask_b32_e32 v36, v36, v7, vcc
	v_pk_add_f32 v[40:41], v[36:37], v[30:31] op_sel_hi:[1,0] neg_lo:[0,1] neg_hi:[0,1]
	v_cmp_gt_f32_e32 vcc, 0, v40
	v_cmp_gt_f32_e64 s[4:5], 0, v41
	v_pk_fma_f32 v[36:37], v[32:33], v[36:37], 1.0 op_sel_hi:[0,1,0] neg_lo:[1,0,0] neg_hi:[1,0,0]
	v_cndmask_b32_e64 v43, 0, v25, s[4:5]
	v_cndmask_b32_e32 v42, 0, v25, vcc
	v_pk_fma_f32 v[36:37], v[36:37], v[42:43], v[112:113]
	v_pk_fma_f32 v[42:43], v[20:21], v[40:41], 1.0 op_sel_hi:[0,1,0] neg_lo:[1,0,0] neg_hi:[1,0,0]
	v_cmp_lt_f32_e64 s[16:17], v40, v38
	v_cmp_lt_f32_e64 s[20:21], v41, v38
	v_cndmask_b32_e64 v43, v43, 1.0, s[4:5]
	v_cndmask_b32_e64 v42, v42, 1.0, vcc
	v_cndmask_b32_e64 v113, 0, 1.0, s[20:21]
	v_cndmask_b32_e64 v112, 0, 1.0, s[16:17]
	v_pk_mul_f32 v[42:43], v[112:113], v[42:43]
	v_pk_mul_f32 v[42:43], v[26:27], v[42:43] op_sel_hi:[0,1]
	v_cmp_lt_f32_e64 s[16:17], v41, v33
	v_cmp_lt_f32_e64 s[20:21], v40, v33
	v_cndmask_b32_e64 v43, v43, -|v43|, s[36:37]
	v_cndmask_b32_e64 v42, v42, -|v42|, s[36:37]
	s_and_b64 s[20:21], s[14:15], s[20:21]
	s_and_b64 s[16:17], s[14:15], s[16:17]
	v_pk_fma_f32 v[36:37], v[42:43], s[30:31], v[36:37] op_sel_hi:[1,0,1]
	v_pk_fma_f32 v[42:43], v[24:25], v[40:41], 1.0 op_sel_hi:[0,1,0] neg_lo:[1,0,0] neg_hi:[1,0,0]
	v_cndmask_b32_e64 v41, 0, 1.0, s[16:17]
	v_cndmask_b32_e64 v40, 0, 1.0, s[20:21]
	v_pk_mul_f32 v[40:41], v[0:1], v[40:41] op_sel_hi:[0,1]
	v_cndmask_b32_e64 v43, v43, 1.0, s[4:5]
	v_cndmask_b32_e64 v42, v42, 1.0, vcc
	v_pk_fma_f32 v[112:113], v[42:43], v[40:41], v[36:37]
	buffer_load_dword v36, off, s[0:3], 0 offset:3960 ; 4-byte Folded Reload
	buffer_load_dword v37, off, s[0:3], 0 offset:3964 ; 4-byte Folded Reload
	v_pk_add_f32 v[40:41], v[48:49], v[4:5] op_sel:[0,1] neg_lo:[0,1] neg_hi:[0,1]
	v_pk_mul_f32 v[40:41], v[40:41], v[40:41]
	v_pk_add_f32 v[42:43], v[80:81], v[6:7] op_sel_hi:[1,0] neg_lo:[0,1] neg_hi:[0,1]
	s_waitcnt vmcnt(0)
	v_pk_add_f32 v[36:37], v[36:37], v[4:5] op_sel_hi:[1,0] neg_lo:[0,1] neg_hi:[0,1]
	v_pk_fma_f32 v[36:37], v[36:37], v[36:37], v[40:41]
	v_pk_fma_f32 v[36:37], v[42:43], v[42:43], v[36:37]
	v_cmp_gt_f32_e32 vcc, s43, v37
	v_mul_f32_e32 v7, 0x4f800000, v37
	v_cndmask_b32_e32 v7, v37, v7, vcc
	v_sqrt_f32_e32 v37, v7
	v_add_u32_e32 v39, -1, v37
	v_fma_f32 v40, -v39, v37, v7
	v_cmp_ge_f32_e64 s[4:5], 0, v40
	v_add_u32_e32 v40, 1, v37
	v_cndmask_b32_e64 v39, v37, v39, s[4:5]
	v_fma_f32 v37, -v40, v37, v7
	v_cmp_lt_f32_e64 s[4:5], 0, v37
	v_cndmask_b32_e64 v37, v39, v40, s[4:5]
	v_mul_f32_e32 v39, 0x37800000, v37
	v_cndmask_b32_e32 v37, v37, v39, vcc
	v_cmp_class_f32_e32 vcc, v7, v21
	v_cndmask_b32_e32 v37, v37, v7, vcc
	v_cmp_gt_f32_e32 vcc, s43, v36
	v_mul_f32_e32 v7, 0x4f800000, v36
	v_cndmask_b32_e32 v7, v36, v7, vcc
	v_sqrt_f32_e32 v36, v7
	v_add_u32_e32 v39, -1, v36
	v_fma_f32 v40, -v39, v36, v7
	v_cmp_ge_f32_e64 s[4:5], 0, v40
	v_add_u32_e32 v40, 1, v36
	v_cndmask_b32_e64 v39, v36, v39, s[4:5]
	v_fma_f32 v36, -v40, v36, v7
	v_cmp_lt_f32_e64 s[4:5], 0, v36
	v_cndmask_b32_e64 v36, v39, v40, s[4:5]
	v_mul_f32_e32 v39, 0x37800000, v36
	v_cndmask_b32_e32 v36, v36, v39, vcc
	v_cmp_class_f32_e32 vcc, v7, v21
	v_cndmask_b32_e32 v36, v36, v7, vcc
	v_pk_add_f32 v[40:41], v[36:37], v[30:31] op_sel_hi:[1,0] neg_lo:[0,1] neg_hi:[0,1]
	v_cmp_gt_f32_e32 vcc, 0, v40
	v_cmp_gt_f32_e64 s[4:5], 0, v41
	v_pk_fma_f32 v[36:37], v[32:33], v[36:37], 1.0 op_sel_hi:[0,1,0] neg_lo:[1,0,0] neg_hi:[1,0,0]
	v_cndmask_b32_e64 v43, 0, v25, s[4:5]
	v_cndmask_b32_e32 v42, 0, v25, vcc
	v_pk_fma_f32 v[36:37], v[36:37], v[42:43], v[100:101]
	v_pk_fma_f32 v[42:43], v[20:21], v[40:41], 1.0 op_sel_hi:[0,1,0] neg_lo:[1,0,0] neg_hi:[1,0,0]
	v_cmp_lt_f32_e64 s[16:17], v40, v38
	v_cmp_lt_f32_e64 s[20:21], v41, v38
	v_cndmask_b32_e64 v43, v43, 1.0, s[4:5]
	v_cndmask_b32_e64 v42, v42, 1.0, vcc
	v_cndmask_b32_e64 v101, 0, 1.0, s[20:21]
	v_cndmask_b32_e64 v100, 0, 1.0, s[16:17]
	v_pk_mul_f32 v[42:43], v[100:101], v[42:43]
	v_pk_mul_f32 v[42:43], v[26:27], v[42:43] op_sel_hi:[0,1]
	v_cmp_lt_f32_e64 s[16:17], v41, v33
	v_cmp_lt_f32_e64 s[20:21], v40, v33
	v_cndmask_b32_e64 v43, v43, -|v43|, s[36:37]
	v_cndmask_b32_e64 v42, v42, -|v42|, s[36:37]
	s_and_b64 s[20:21], s[14:15], s[20:21]
	s_and_b64 s[16:17], s[14:15], s[16:17]
	v_pk_fma_f32 v[36:37], v[42:43], s[30:31], v[36:37] op_sel_hi:[1,0,1]
	v_pk_fma_f32 v[42:43], v[24:25], v[40:41], 1.0 op_sel_hi:[0,1,0] neg_lo:[1,0,0] neg_hi:[1,0,0]
	v_cndmask_b32_e64 v41, 0, 1.0, s[16:17]
	v_cndmask_b32_e64 v40, 0, 1.0, s[20:21]
	v_pk_mul_f32 v[40:41], v[0:1], v[40:41] op_sel_hi:[0,1]
	v_cndmask_b32_e64 v43, v43, 1.0, s[4:5]
	v_cndmask_b32_e64 v42, v42, 1.0, vcc
	v_pk_fma_f32 v[100:101], v[42:43], v[40:41], v[36:37]
	v_pk_add_f32 v[40:41], v[52:53], v[4:5] op_sel:[0,1] neg_lo:[0,1] neg_hi:[0,1]
	v_pk_add_f32 v[36:37], v[50:51], v[4:5] op_sel_hi:[1,0] neg_lo:[0,1] neg_hi:[0,1]
	v_pk_mul_f32 v[40:41], v[40:41], v[40:41]
	v_pk_add_f32 v[42:43], v[82:83], v[6:7] op_sel_hi:[1,0] neg_lo:[0,1] neg_hi:[0,1]
	v_pk_fma_f32 v[36:37], v[36:37], v[36:37], v[40:41]
	v_pk_fma_f32 v[36:37], v[42:43], v[42:43], v[36:37]
	v_cmp_gt_f32_e32 vcc, s43, v37
	v_mul_f32_e32 v7, 0x4f800000, v37
	v_cndmask_b32_e32 v7, v37, v7, vcc
	v_sqrt_f32_e32 v37, v7
	v_add_u32_e32 v39, -1, v37
	v_fma_f32 v40, -v39, v37, v7
	v_cmp_ge_f32_e64 s[4:5], 0, v40
	v_add_u32_e32 v40, 1, v37
	v_cndmask_b32_e64 v39, v37, v39, s[4:5]
	v_fma_f32 v37, -v40, v37, v7
	v_cmp_lt_f32_e64 s[4:5], 0, v37
	v_cndmask_b32_e64 v37, v39, v40, s[4:5]
	v_mul_f32_e32 v39, 0x37800000, v37
	v_cndmask_b32_e32 v37, v37, v39, vcc
	v_cmp_class_f32_e32 vcc, v7, v21
	v_cndmask_b32_e32 v37, v37, v7, vcc
	v_cmp_gt_f32_e32 vcc, s43, v36
	v_mul_f32_e32 v7, 0x4f800000, v36
	v_cndmask_b32_e32 v7, v36, v7, vcc
	v_sqrt_f32_e32 v36, v7
	v_add_u32_e32 v39, -1, v36
	v_fma_f32 v40, -v39, v36, v7
	v_cmp_ge_f32_e64 s[4:5], 0, v40
	v_add_u32_e32 v40, 1, v36
	v_cndmask_b32_e64 v39, v36, v39, s[4:5]
	v_fma_f32 v36, -v40, v36, v7
	v_cmp_lt_f32_e64 s[4:5], 0, v36
	v_cndmask_b32_e64 v36, v39, v40, s[4:5]
	v_mul_f32_e32 v39, 0x37800000, v36
	v_cndmask_b32_e32 v36, v36, v39, vcc
	v_cmp_class_f32_e32 vcc, v7, v21
	v_cndmask_b32_e32 v36, v36, v7, vcc
	v_pk_add_f32 v[40:41], v[36:37], v[30:31] op_sel_hi:[1,0] neg_lo:[0,1] neg_hi:[0,1]
	v_cmp_gt_f32_e32 vcc, 0, v40
	v_cmp_gt_f32_e64 s[4:5], 0, v41
	v_pk_fma_f32 v[36:37], v[32:33], v[36:37], 1.0 op_sel_hi:[0,1,0] neg_lo:[1,0,0] neg_hi:[1,0,0]
	v_cndmask_b32_e64 v43, 0, v25, s[4:5]
	v_cndmask_b32_e32 v42, 0, v25, vcc
	v_pk_fma_f32 v[36:37], v[36:37], v[42:43], v[88:89]
	v_pk_fma_f32 v[42:43], v[20:21], v[40:41], 1.0 op_sel_hi:[0,1,0] neg_lo:[1,0,0] neg_hi:[1,0,0]
	v_cmp_lt_f32_e64 s[16:17], v40, v38
	v_cmp_lt_f32_e64 s[20:21], v41, v38
	v_cndmask_b32_e64 v43, v43, 1.0, s[4:5]
	v_cndmask_b32_e64 v42, v42, 1.0, vcc
	v_cndmask_b32_e64 v89, 0, 1.0, s[20:21]
	v_cndmask_b32_e64 v88, 0, 1.0, s[16:17]
	v_pk_mul_f32 v[42:43], v[88:89], v[42:43]
	v_pk_mul_f32 v[42:43], v[26:27], v[42:43] op_sel_hi:[0,1]
	v_cmp_lt_f32_e64 s[16:17], v41, v33
	v_cmp_lt_f32_e64 s[20:21], v40, v33
	v_cndmask_b32_e64 v43, v43, -|v43|, s[36:37]
	v_cndmask_b32_e64 v42, v42, -|v42|, s[36:37]
	s_and_b64 s[20:21], s[14:15], s[20:21]
	s_and_b64 s[16:17], s[14:15], s[16:17]
	v_pk_fma_f32 v[36:37], v[42:43], s[30:31], v[36:37] op_sel_hi:[1,0,1]
	v_pk_fma_f32 v[42:43], v[24:25], v[40:41], 1.0 op_sel_hi:[0,1,0] neg_lo:[1,0,0] neg_hi:[1,0,0]
	v_cndmask_b32_e64 v41, 0, 1.0, s[16:17]
	v_cndmask_b32_e64 v40, 0, 1.0, s[20:21]
	v_pk_mul_f32 v[40:41], v[0:1], v[40:41] op_sel_hi:[0,1]
	v_cndmask_b32_e64 v43, v43, 1.0, s[4:5]
	v_cndmask_b32_e64 v42, v42, 1.0, vcc
	v_pk_fma_f32 v[88:89], v[42:43], v[40:41], v[36:37]
	v_pk_add_f32 v[40:41], v[56:57], v[4:5] op_sel:[0,1] neg_lo:[0,1] neg_hi:[0,1]
	v_pk_add_f32 v[36:37], v[54:55], v[4:5] op_sel_hi:[1,0] neg_lo:[0,1] neg_hi:[0,1]
	v_pk_mul_f32 v[40:41], v[40:41], v[40:41]
	v_pk_add_f32 v[42:43], v[86:87], v[6:7] op_sel_hi:[1,0] neg_lo:[0,1] neg_hi:[0,1]
	v_pk_fma_f32 v[36:37], v[36:37], v[36:37], v[40:41]
	v_pk_fma_f32 v[36:37], v[42:43], v[42:43], v[36:37]
	v_cmp_gt_f32_e32 vcc, s43, v37
	v_mul_f32_e32 v7, 0x4f800000, v37
	v_cndmask_b32_e32 v7, v37, v7, vcc
	v_sqrt_f32_e32 v37, v7
	v_add_u32_e32 v39, -1, v37
	v_fma_f32 v40, -v39, v37, v7
	v_cmp_ge_f32_e64 s[4:5], 0, v40
	v_add_u32_e32 v40, 1, v37
	v_cndmask_b32_e64 v39, v37, v39, s[4:5]
	v_fma_f32 v37, -v40, v37, v7
	v_cmp_lt_f32_e64 s[4:5], 0, v37
	v_cndmask_b32_e64 v37, v39, v40, s[4:5]
	v_mul_f32_e32 v39, 0x37800000, v37
	v_cndmask_b32_e32 v37, v37, v39, vcc
	v_cmp_class_f32_e32 vcc, v7, v21
	v_cndmask_b32_e32 v37, v37, v7, vcc
	v_cmp_gt_f32_e32 vcc, s43, v36
	v_mul_f32_e32 v7, 0x4f800000, v36
	v_cndmask_b32_e32 v7, v36, v7, vcc
	v_sqrt_f32_e32 v36, v7
	v_add_u32_e32 v39, -1, v36
	v_fma_f32 v40, -v39, v36, v7
	v_cmp_ge_f32_e64 s[4:5], 0, v40
	v_add_u32_e32 v40, 1, v36
	v_cndmask_b32_e64 v39, v36, v39, s[4:5]
	v_fma_f32 v36, -v40, v36, v7
	v_cmp_lt_f32_e64 s[4:5], 0, v36
	v_cndmask_b32_e64 v36, v39, v40, s[4:5]
	v_mul_f32_e32 v39, 0x37800000, v36
	v_cndmask_b32_e32 v36, v36, v39, vcc
	v_cmp_class_f32_e32 vcc, v7, v21
	v_cndmask_b32_e32 v36, v36, v7, vcc
	v_pk_add_f32 v[40:41], v[36:37], v[30:31] op_sel_hi:[1,0] neg_lo:[0,1] neg_hi:[0,1]
	v_cmp_gt_f32_e32 vcc, 0, v40
	v_cmp_gt_f32_e64 s[4:5], 0, v41
	v_pk_fma_f32 v[36:37], v[32:33], v[36:37], 1.0 op_sel_hi:[0,1,0] neg_lo:[1,0,0] neg_hi:[1,0,0]
	v_cndmask_b32_e64 v43, 0, v25, s[4:5]
	v_cndmask_b32_e32 v42, 0, v25, vcc
	v_pk_fma_f32 v[36:37], v[36:37], v[42:43], v[126:127]
	v_pk_fma_f32 v[42:43], v[20:21], v[40:41], 1.0 op_sel_hi:[0,1,0] neg_lo:[1,0,0] neg_hi:[1,0,0]
	v_cmp_lt_f32_e64 s[16:17], v40, v38
	v_cmp_lt_f32_e64 s[20:21], v41, v38
	v_cndmask_b32_e64 v43, v43, 1.0, s[4:5]
	v_cndmask_b32_e64 v42, v42, 1.0, vcc
	v_cndmask_b32_e64 v127, 0, 1.0, s[20:21]
	v_cndmask_b32_e64 v126, 0, 1.0, s[16:17]
	v_pk_mul_f32 v[42:43], v[126:127], v[42:43]
	v_pk_mul_f32 v[42:43], v[26:27], v[42:43] op_sel_hi:[0,1]
	v_cmp_lt_f32_e64 s[16:17], v41, v33
	v_cmp_lt_f32_e64 s[20:21], v40, v33
	v_cndmask_b32_e64 v43, v43, -|v43|, s[36:37]
	v_cndmask_b32_e64 v42, v42, -|v42|, s[36:37]
	s_and_b64 s[20:21], s[14:15], s[20:21]
	s_and_b64 s[16:17], s[14:15], s[16:17]
	v_pk_fma_f32 v[36:37], v[42:43], s[30:31], v[36:37] op_sel_hi:[1,0,1]
	v_pk_fma_f32 v[42:43], v[24:25], v[40:41], 1.0 op_sel_hi:[0,1,0] neg_lo:[1,0,0] neg_hi:[1,0,0]
	v_cndmask_b32_e64 v41, 0, 1.0, s[16:17]
	v_cndmask_b32_e64 v40, 0, 1.0, s[20:21]
	v_pk_mul_f32 v[40:41], v[0:1], v[40:41] op_sel_hi:[0,1]
	v_cndmask_b32_e64 v43, v43, 1.0, s[4:5]
	v_cndmask_b32_e64 v42, v42, 1.0, vcc
	v_pk_fma_f32 v[126:127], v[42:43], v[40:41], v[36:37]
	buffer_load_dword v36, off, s[0:3], 0 offset:3344 ; 4-byte Folded Reload
	buffer_load_dword v37, off, s[0:3], 0 offset:3348 ; 4-byte Folded Reload
	;; [unrolled: 1-line block ×6, first 2 shown]
	s_waitcnt vmcnt(4)
	v_pk_add_f32 v[36:37], v[36:37], v[4:5] op_sel_hi:[1,0] neg_lo:[0,1] neg_hi:[0,1]
	s_waitcnt vmcnt(2)
	v_pk_add_f32 v[40:41], v[40:41], v[4:5] op_sel:[0,1] neg_lo:[0,1] neg_hi:[0,1]
	v_pk_mul_f32 v[40:41], v[40:41], v[40:41]
	s_waitcnt vmcnt(0)
	v_pk_add_f32 v[42:43], v[42:43], v[6:7] op_sel_hi:[1,0] neg_lo:[0,1] neg_hi:[0,1]
	v_pk_fma_f32 v[36:37], v[36:37], v[36:37], v[40:41]
	v_pk_fma_f32 v[36:37], v[42:43], v[42:43], v[36:37]
	v_cmp_gt_f32_e32 vcc, s43, v37
	v_mul_f32_e32 v7, 0x4f800000, v37
	v_cndmask_b32_e32 v7, v37, v7, vcc
	v_sqrt_f32_e32 v37, v7
	v_add_u32_e32 v39, -1, v37
	v_fma_f32 v40, -v39, v37, v7
	v_cmp_ge_f32_e64 s[4:5], 0, v40
	v_add_u32_e32 v40, 1, v37
	v_cndmask_b32_e64 v39, v37, v39, s[4:5]
	v_fma_f32 v37, -v40, v37, v7
	v_cmp_lt_f32_e64 s[4:5], 0, v37
	v_cndmask_b32_e64 v37, v39, v40, s[4:5]
	v_mul_f32_e32 v39, 0x37800000, v37
	v_cndmask_b32_e32 v37, v37, v39, vcc
	v_cmp_class_f32_e32 vcc, v7, v21
	v_cndmask_b32_e32 v37, v37, v7, vcc
	v_cmp_gt_f32_e32 vcc, s43, v36
	v_mul_f32_e32 v7, 0x4f800000, v36
	v_cndmask_b32_e32 v7, v36, v7, vcc
	v_sqrt_f32_e32 v36, v7
	v_add_u32_e32 v39, -1, v36
	v_fma_f32 v40, -v39, v36, v7
	v_cmp_ge_f32_e64 s[4:5], 0, v40
	v_add_u32_e32 v40, 1, v36
	v_cndmask_b32_e64 v39, v36, v39, s[4:5]
	v_fma_f32 v36, -v40, v36, v7
	v_cmp_lt_f32_e64 s[4:5], 0, v36
	v_cndmask_b32_e64 v36, v39, v40, s[4:5]
	v_mul_f32_e32 v39, 0x37800000, v36
	v_cndmask_b32_e32 v36, v36, v39, vcc
	v_cmp_class_f32_e32 vcc, v7, v21
	v_cndmask_b32_e32 v36, v36, v7, vcc
	v_pk_add_f32 v[40:41], v[36:37], v[30:31] op_sel_hi:[1,0] neg_lo:[0,1] neg_hi:[0,1]
	v_cmp_gt_f32_e32 vcc, 0, v40
	v_cmp_gt_f32_e64 s[4:5], 0, v41
	v_pk_fma_f32 v[36:37], v[32:33], v[36:37], 1.0 op_sel_hi:[0,1,0] neg_lo:[1,0,0] neg_hi:[1,0,0]
	v_cndmask_b32_e64 v43, 0, v25, s[4:5]
	v_cndmask_b32_e32 v42, 0, v25, vcc
	v_pk_fma_f32 v[36:37], v[36:37], v[42:43], v[114:115]
	v_pk_fma_f32 v[42:43], v[20:21], v[40:41], 1.0 op_sel_hi:[0,1,0] neg_lo:[1,0,0] neg_hi:[1,0,0]
	v_cmp_lt_f32_e64 s[16:17], v40, v38
	v_cmp_lt_f32_e64 s[20:21], v41, v38
	v_cndmask_b32_e64 v43, v43, 1.0, s[4:5]
	v_cndmask_b32_e64 v42, v42, 1.0, vcc
	v_cndmask_b32_e64 v115, 0, 1.0, s[20:21]
	v_cndmask_b32_e64 v114, 0, 1.0, s[16:17]
	v_pk_mul_f32 v[42:43], v[114:115], v[42:43]
	v_pk_mul_f32 v[42:43], v[26:27], v[42:43] op_sel_hi:[0,1]
	v_cmp_lt_f32_e64 s[16:17], v41, v33
	v_cmp_lt_f32_e64 s[20:21], v40, v33
	v_cndmask_b32_e64 v43, v43, -|v43|, s[36:37]
	v_cndmask_b32_e64 v42, v42, -|v42|, s[36:37]
	s_and_b64 s[20:21], s[14:15], s[20:21]
	s_and_b64 s[16:17], s[14:15], s[16:17]
	v_pk_fma_f32 v[36:37], v[42:43], s[30:31], v[36:37] op_sel_hi:[1,0,1]
	v_pk_fma_f32 v[42:43], v[24:25], v[40:41], 1.0 op_sel_hi:[0,1,0] neg_lo:[1,0,0] neg_hi:[1,0,0]
	v_cndmask_b32_e64 v41, 0, 1.0, s[16:17]
	v_cndmask_b32_e64 v40, 0, 1.0, s[20:21]
	v_pk_mul_f32 v[40:41], v[0:1], v[40:41] op_sel_hi:[0,1]
	v_cndmask_b32_e64 v43, v43, 1.0, s[4:5]
	v_cndmask_b32_e64 v42, v42, 1.0, vcc
	v_pk_fma_f32 v[114:115], v[42:43], v[40:41], v[36:37]
	buffer_load_dword v36, off, s[0:3], 0 offset:3360 ; 4-byte Folded Reload
	buffer_load_dword v37, off, s[0:3], 0 offset:3364 ; 4-byte Folded Reload
	;; [unrolled: 1-line block ×6, first 2 shown]
	s_waitcnt vmcnt(4)
	v_pk_add_f32 v[36:37], v[36:37], v[4:5] op_sel_hi:[1,0] neg_lo:[0,1] neg_hi:[0,1]
	s_waitcnt vmcnt(2)
	v_pk_add_f32 v[40:41], v[40:41], v[4:5] op_sel:[0,1] neg_lo:[0,1] neg_hi:[0,1]
	v_pk_mul_f32 v[40:41], v[40:41], v[40:41]
	s_waitcnt vmcnt(0)
	v_pk_add_f32 v[42:43], v[42:43], v[6:7] op_sel_hi:[1,0] neg_lo:[0,1] neg_hi:[0,1]
	v_pk_fma_f32 v[36:37], v[36:37], v[36:37], v[40:41]
	v_pk_fma_f32 v[36:37], v[42:43], v[42:43], v[36:37]
	v_cmp_gt_f32_e32 vcc, s43, v37
	v_mul_f32_e32 v7, 0x4f800000, v37
	v_cndmask_b32_e32 v7, v37, v7, vcc
	v_sqrt_f32_e32 v37, v7
	v_add_u32_e32 v39, -1, v37
	v_fma_f32 v40, -v39, v37, v7
	v_cmp_ge_f32_e64 s[4:5], 0, v40
	v_add_u32_e32 v40, 1, v37
	v_cndmask_b32_e64 v39, v37, v39, s[4:5]
	v_fma_f32 v37, -v40, v37, v7
	v_cmp_lt_f32_e64 s[4:5], 0, v37
	v_cndmask_b32_e64 v37, v39, v40, s[4:5]
	v_mul_f32_e32 v39, 0x37800000, v37
	v_cndmask_b32_e32 v37, v37, v39, vcc
	v_cmp_class_f32_e32 vcc, v7, v21
	v_cndmask_b32_e32 v37, v37, v7, vcc
	v_cmp_gt_f32_e32 vcc, s43, v36
	v_mul_f32_e32 v7, 0x4f800000, v36
	v_cndmask_b32_e32 v7, v36, v7, vcc
	v_sqrt_f32_e32 v36, v7
	v_add_u32_e32 v39, -1, v36
	v_fma_f32 v40, -v39, v36, v7
	v_cmp_ge_f32_e64 s[4:5], 0, v40
	v_add_u32_e32 v40, 1, v36
	v_cndmask_b32_e64 v39, v36, v39, s[4:5]
	v_fma_f32 v36, -v40, v36, v7
	v_cmp_lt_f32_e64 s[4:5], 0, v36
	v_cndmask_b32_e64 v36, v39, v40, s[4:5]
	v_mul_f32_e32 v39, 0x37800000, v36
	v_cndmask_b32_e32 v36, v36, v39, vcc
	v_cmp_class_f32_e32 vcc, v7, v21
	v_cndmask_b32_e32 v36, v36, v7, vcc
	v_pk_add_f32 v[40:41], v[36:37], v[30:31] op_sel_hi:[1,0] neg_lo:[0,1] neg_hi:[0,1]
	v_cmp_gt_f32_e32 vcc, 0, v40
	v_cmp_gt_f32_e64 s[4:5], 0, v41
	v_pk_fma_f32 v[36:37], v[32:33], v[36:37], 1.0 op_sel_hi:[0,1,0] neg_lo:[1,0,0] neg_hi:[1,0,0]
	v_cndmask_b32_e64 v43, 0, v25, s[4:5]
	v_cndmask_b32_e32 v42, 0, v25, vcc
	v_pk_fma_f32 v[36:37], v[36:37], v[42:43], v[102:103]
	v_pk_fma_f32 v[42:43], v[20:21], v[40:41], 1.0 op_sel_hi:[0,1,0] neg_lo:[1,0,0] neg_hi:[1,0,0]
	v_cmp_lt_f32_e64 s[16:17], v40, v38
	v_cmp_lt_f32_e64 s[20:21], v41, v38
	v_cndmask_b32_e64 v43, v43, 1.0, s[4:5]
	v_cndmask_b32_e64 v42, v42, 1.0, vcc
	v_cndmask_b32_e64 v103, 0, 1.0, s[20:21]
	v_cndmask_b32_e64 v102, 0, 1.0, s[16:17]
	v_pk_mul_f32 v[42:43], v[102:103], v[42:43]
	v_pk_mul_f32 v[42:43], v[26:27], v[42:43] op_sel_hi:[0,1]
	v_cmp_lt_f32_e64 s[16:17], v41, v33
	v_cmp_lt_f32_e64 s[20:21], v40, v33
	v_cndmask_b32_e64 v43, v43, -|v43|, s[36:37]
	v_cndmask_b32_e64 v42, v42, -|v42|, s[36:37]
	s_and_b64 s[20:21], s[14:15], s[20:21]
	s_and_b64 s[16:17], s[14:15], s[16:17]
	v_pk_fma_f32 v[36:37], v[42:43], s[30:31], v[36:37] op_sel_hi:[1,0,1]
	v_pk_fma_f32 v[42:43], v[24:25], v[40:41], 1.0 op_sel_hi:[0,1,0] neg_lo:[1,0,0] neg_hi:[1,0,0]
	v_cndmask_b32_e64 v41, 0, 1.0, s[16:17]
	v_cndmask_b32_e64 v40, 0, 1.0, s[20:21]
	v_pk_mul_f32 v[40:41], v[0:1], v[40:41] op_sel_hi:[0,1]
	v_cndmask_b32_e64 v43, v43, 1.0, s[4:5]
	v_cndmask_b32_e64 v42, v42, 1.0, vcc
	v_pk_fma_f32 v[102:103], v[42:43], v[40:41], v[36:37]
	buffer_load_dword v36, off, s[0:3], 0 offset:3376 ; 4-byte Folded Reload
	buffer_load_dword v37, off, s[0:3], 0 offset:3380 ; 4-byte Folded Reload
	;; [unrolled: 1-line block ×6, first 2 shown]
	s_waitcnt vmcnt(4)
	v_pk_add_f32 v[36:37], v[36:37], v[4:5] op_sel_hi:[1,0] neg_lo:[0,1] neg_hi:[0,1]
	s_waitcnt vmcnt(2)
	v_pk_add_f32 v[40:41], v[40:41], v[4:5] op_sel:[0,1] neg_lo:[0,1] neg_hi:[0,1]
	v_pk_mul_f32 v[40:41], v[40:41], v[40:41]
	s_waitcnt vmcnt(0)
	v_pk_add_f32 v[42:43], v[42:43], v[6:7] op_sel_hi:[1,0] neg_lo:[0,1] neg_hi:[0,1]
	v_pk_fma_f32 v[36:37], v[36:37], v[36:37], v[40:41]
	v_pk_fma_f32 v[36:37], v[42:43], v[42:43], v[36:37]
	v_cmp_gt_f32_e32 vcc, s43, v37
	v_mul_f32_e32 v7, 0x4f800000, v37
	v_cndmask_b32_e32 v7, v37, v7, vcc
	v_sqrt_f32_e32 v37, v7
	v_add_u32_e32 v39, -1, v37
	v_fma_f32 v40, -v39, v37, v7
	v_cmp_ge_f32_e64 s[4:5], 0, v40
	v_add_u32_e32 v40, 1, v37
	v_cndmask_b32_e64 v39, v37, v39, s[4:5]
	v_fma_f32 v37, -v40, v37, v7
	v_cmp_lt_f32_e64 s[4:5], 0, v37
	v_cndmask_b32_e64 v37, v39, v40, s[4:5]
	v_mul_f32_e32 v39, 0x37800000, v37
	v_cndmask_b32_e32 v37, v37, v39, vcc
	v_cmp_class_f32_e32 vcc, v7, v21
	v_cndmask_b32_e32 v37, v37, v7, vcc
	v_cmp_gt_f32_e32 vcc, s43, v36
	v_mul_f32_e32 v7, 0x4f800000, v36
	v_cndmask_b32_e32 v7, v36, v7, vcc
	v_sqrt_f32_e32 v36, v7
	v_add_u32_e32 v39, -1, v36
	v_fma_f32 v40, -v39, v36, v7
	v_cmp_ge_f32_e64 s[4:5], 0, v40
	v_add_u32_e32 v40, 1, v36
	v_cndmask_b32_e64 v39, v36, v39, s[4:5]
	v_fma_f32 v36, -v40, v36, v7
	v_cmp_lt_f32_e64 s[4:5], 0, v36
	v_cndmask_b32_e64 v36, v39, v40, s[4:5]
	v_mul_f32_e32 v39, 0x37800000, v36
	v_cndmask_b32_e32 v36, v36, v39, vcc
	v_cmp_class_f32_e32 vcc, v7, v21
	v_cndmask_b32_e32 v36, v36, v7, vcc
	v_pk_add_f32 v[40:41], v[36:37], v[30:31] op_sel_hi:[1,0] neg_lo:[0,1] neg_hi:[0,1]
	v_cmp_gt_f32_e32 vcc, 0, v40
	v_cmp_gt_f32_e64 s[4:5], 0, v41
	v_pk_fma_f32 v[36:37], v[32:33], v[36:37], 1.0 op_sel_hi:[0,1,0] neg_lo:[1,0,0] neg_hi:[1,0,0]
	v_cndmask_b32_e64 v43, 0, v25, s[4:5]
	v_cndmask_b32_e32 v42, 0, v25, vcc
	v_pk_fma_f32 v[36:37], v[36:37], v[42:43], v[90:91]
	v_pk_fma_f32 v[42:43], v[20:21], v[40:41], 1.0 op_sel_hi:[0,1,0] neg_lo:[1,0,0] neg_hi:[1,0,0]
	v_cmp_lt_f32_e64 s[16:17], v40, v38
	v_cmp_lt_f32_e64 s[20:21], v41, v38
	v_cndmask_b32_e64 v43, v43, 1.0, s[4:5]
	v_cndmask_b32_e64 v42, v42, 1.0, vcc
	v_cndmask_b32_e64 v91, 0, 1.0, s[20:21]
	v_cndmask_b32_e64 v90, 0, 1.0, s[16:17]
	v_pk_mul_f32 v[42:43], v[90:91], v[42:43]
	v_pk_mul_f32 v[42:43], v[26:27], v[42:43] op_sel_hi:[0,1]
	v_cmp_lt_f32_e64 s[16:17], v41, v33
	v_cmp_lt_f32_e64 s[20:21], v40, v33
	v_cndmask_b32_e64 v43, v43, -|v43|, s[36:37]
	v_cndmask_b32_e64 v42, v42, -|v42|, s[36:37]
	s_and_b64 s[20:21], s[14:15], s[20:21]
	s_and_b64 s[16:17], s[14:15], s[16:17]
	v_pk_fma_f32 v[36:37], v[42:43], s[30:31], v[36:37] op_sel_hi:[1,0,1]
	v_pk_fma_f32 v[42:43], v[24:25], v[40:41], 1.0 op_sel_hi:[0,1,0] neg_lo:[1,0,0] neg_hi:[1,0,0]
	v_cndmask_b32_e64 v41, 0, 1.0, s[16:17]
	v_cndmask_b32_e64 v40, 0, 1.0, s[20:21]
	v_pk_mul_f32 v[40:41], v[0:1], v[40:41] op_sel_hi:[0,1]
	v_cndmask_b32_e64 v43, v43, 1.0, s[4:5]
	v_cndmask_b32_e64 v42, v42, 1.0, vcc
	v_pk_fma_f32 v[90:91], v[42:43], v[40:41], v[36:37]
	buffer_load_dword v36, off, s[0:3], 0 offset:3392 ; 4-byte Folded Reload
	buffer_load_dword v37, off, s[0:3], 0 offset:3396 ; 4-byte Folded Reload
	;; [unrolled: 1-line block ×6, first 2 shown]
	s_waitcnt vmcnt(4)
	v_pk_add_f32 v[36:37], v[36:37], v[4:5] op_sel_hi:[1,0] neg_lo:[0,1] neg_hi:[0,1]
	s_waitcnt vmcnt(2)
	v_pk_add_f32 v[40:41], v[40:41], v[4:5] op_sel:[0,1] neg_lo:[0,1] neg_hi:[0,1]
	v_pk_mul_f32 v[40:41], v[40:41], v[40:41]
	s_waitcnt vmcnt(0)
	v_pk_add_f32 v[42:43], v[42:43], v[6:7] op_sel_hi:[1,0] neg_lo:[0,1] neg_hi:[0,1]
	v_pk_fma_f32 v[36:37], v[36:37], v[36:37], v[40:41]
	v_pk_fma_f32 v[36:37], v[42:43], v[42:43], v[36:37]
	v_cmp_gt_f32_e32 vcc, s43, v37
	v_mul_f32_e32 v7, 0x4f800000, v37
	v_cndmask_b32_e32 v7, v37, v7, vcc
	v_sqrt_f32_e32 v37, v7
	v_add_u32_e32 v39, -1, v37
	v_fma_f32 v40, -v39, v37, v7
	v_cmp_ge_f32_e64 s[4:5], 0, v40
	v_add_u32_e32 v40, 1, v37
	v_cndmask_b32_e64 v39, v37, v39, s[4:5]
	v_fma_f32 v37, -v40, v37, v7
	v_cmp_lt_f32_e64 s[4:5], 0, v37
	v_cndmask_b32_e64 v37, v39, v40, s[4:5]
	v_mul_f32_e32 v39, 0x37800000, v37
	v_cndmask_b32_e32 v37, v37, v39, vcc
	v_cmp_class_f32_e32 vcc, v7, v21
	v_cndmask_b32_e32 v37, v37, v7, vcc
	v_cmp_gt_f32_e32 vcc, s43, v36
	v_mul_f32_e32 v7, 0x4f800000, v36
	v_cndmask_b32_e32 v7, v36, v7, vcc
	v_sqrt_f32_e32 v36, v7
	v_add_u32_e32 v39, -1, v36
	v_fma_f32 v40, -v39, v36, v7
	v_cmp_ge_f32_e64 s[4:5], 0, v40
	v_add_u32_e32 v40, 1, v36
	v_cndmask_b32_e64 v39, v36, v39, s[4:5]
	v_fma_f32 v36, -v40, v36, v7
	v_cmp_lt_f32_e64 s[4:5], 0, v36
	v_cndmask_b32_e64 v36, v39, v40, s[4:5]
	v_mul_f32_e32 v39, 0x37800000, v36
	v_cndmask_b32_e32 v36, v36, v39, vcc
	v_cmp_class_f32_e32 vcc, v7, v21
	v_cndmask_b32_e32 v36, v36, v7, vcc
	v_pk_add_f32 v[40:41], v[36:37], v[30:31] op_sel_hi:[1,0] neg_lo:[0,1] neg_hi:[0,1]
	v_cmp_gt_f32_e32 vcc, 0, v40
	v_cmp_gt_f32_e64 s[4:5], 0, v41
	v_pk_fma_f32 v[36:37], v[32:33], v[36:37], 1.0 op_sel_hi:[0,1,0] neg_lo:[1,0,0] neg_hi:[1,0,0]
	v_cndmask_b32_e64 v43, 0, v25, s[4:5]
	v_cndmask_b32_e32 v42, 0, v25, vcc
	v_pk_fma_f32 v[12:13], v[36:37], v[42:43], v[12:13]
	v_pk_fma_f32 v[36:37], v[20:21], v[40:41], 1.0 op_sel_hi:[0,1,0] neg_lo:[1,0,0] neg_hi:[1,0,0]
	v_cmp_lt_f32_e64 s[16:17], v40, v38
	v_cmp_lt_f32_e64 s[20:21], v41, v38
	v_cndmask_b32_e64 v37, v37, 1.0, s[4:5]
	v_cndmask_b32_e64 v36, v36, 1.0, vcc
	v_cndmask_b32_e64 v43, 0, 1.0, s[20:21]
	v_cndmask_b32_e64 v42, 0, 1.0, s[16:17]
	v_pk_mul_f32 v[36:37], v[42:43], v[36:37]
	v_pk_mul_f32 v[36:37], v[26:27], v[36:37] op_sel_hi:[0,1]
	v_cmp_lt_f32_e64 s[16:17], v41, v33
	v_cmp_lt_f32_e64 s[20:21], v40, v33
	v_cndmask_b32_e64 v37, v37, -|v37|, s[36:37]
	v_cndmask_b32_e64 v36, v36, -|v36|, s[36:37]
	s_and_b64 s[20:21], s[14:15], s[20:21]
	s_and_b64 s[16:17], s[14:15], s[16:17]
	v_pk_fma_f32 v[12:13], v[36:37], s[30:31], v[12:13] op_sel_hi:[1,0,1]
	v_pk_fma_f32 v[36:37], v[24:25], v[40:41], 1.0 op_sel_hi:[0,1,0] neg_lo:[1,0,0] neg_hi:[1,0,0]
	v_cndmask_b32_e64 v41, 0, 1.0, s[16:17]
	v_cndmask_b32_e64 v40, 0, 1.0, s[20:21]
	v_pk_mul_f32 v[40:41], v[0:1], v[40:41] op_sel_hi:[0,1]
	v_cndmask_b32_e64 v37, v37, 1.0, s[4:5]
	v_cndmask_b32_e64 v36, v36, 1.0, vcc
	v_pk_fma_f32 v[12:13], v[36:37], v[40:41], v[12:13]
	buffer_load_dword v36, off, s[0:3], 0 offset:3408 ; 4-byte Folded Reload
	buffer_load_dword v37, off, s[0:3], 0 offset:3412 ; 4-byte Folded Reload
	;; [unrolled: 1-line block ×6, first 2 shown]
	s_waitcnt vmcnt(4)
	v_pk_add_f32 v[36:37], v[36:37], v[4:5] op_sel_hi:[1,0] neg_lo:[0,1] neg_hi:[0,1]
	s_waitcnt vmcnt(2)
	v_pk_add_f32 v[40:41], v[40:41], v[4:5] op_sel:[0,1] neg_lo:[0,1] neg_hi:[0,1]
	v_pk_mul_f32 v[40:41], v[40:41], v[40:41]
	s_waitcnt vmcnt(0)
	v_pk_add_f32 v[42:43], v[42:43], v[6:7] op_sel_hi:[1,0] neg_lo:[0,1] neg_hi:[0,1]
	v_pk_fma_f32 v[36:37], v[36:37], v[36:37], v[40:41]
	v_pk_fma_f32 v[36:37], v[42:43], v[42:43], v[36:37]
	v_cmp_gt_f32_e32 vcc, s43, v37
	v_mul_f32_e32 v7, 0x4f800000, v37
	v_cndmask_b32_e32 v7, v37, v7, vcc
	v_sqrt_f32_e32 v37, v7
	v_add_u32_e32 v39, -1, v37
	v_fma_f32 v40, -v39, v37, v7
	v_cmp_ge_f32_e64 s[4:5], 0, v40
	v_add_u32_e32 v40, 1, v37
	v_cndmask_b32_e64 v39, v37, v39, s[4:5]
	v_fma_f32 v37, -v40, v37, v7
	v_cmp_lt_f32_e64 s[4:5], 0, v37
	v_cndmask_b32_e64 v37, v39, v40, s[4:5]
	v_mul_f32_e32 v39, 0x37800000, v37
	v_cndmask_b32_e32 v37, v37, v39, vcc
	v_cmp_class_f32_e32 vcc, v7, v21
	v_cndmask_b32_e32 v37, v37, v7, vcc
	v_cmp_gt_f32_e32 vcc, s43, v36
	v_mul_f32_e32 v7, 0x4f800000, v36
	v_cndmask_b32_e32 v7, v36, v7, vcc
	v_sqrt_f32_e32 v36, v7
	v_add_u32_e32 v39, -1, v36
	v_fma_f32 v40, -v39, v36, v7
	v_cmp_ge_f32_e64 s[4:5], 0, v40
	v_add_u32_e32 v40, 1, v36
	v_cndmask_b32_e64 v39, v36, v39, s[4:5]
	v_fma_f32 v36, -v40, v36, v7
	v_cmp_lt_f32_e64 s[4:5], 0, v36
	v_cndmask_b32_e64 v36, v39, v40, s[4:5]
	v_mul_f32_e32 v39, 0x37800000, v36
	v_cndmask_b32_e32 v36, v36, v39, vcc
	v_cmp_class_f32_e32 vcc, v7, v21
	v_cndmask_b32_e32 v36, v36, v7, vcc
	v_pk_add_f32 v[40:41], v[36:37], v[30:31] op_sel_hi:[1,0] neg_lo:[0,1] neg_hi:[0,1]
	v_cmp_gt_f32_e32 vcc, 0, v40
	v_cmp_gt_f32_e64 s[4:5], 0, v41
	v_pk_fma_f32 v[36:37], v[32:33], v[36:37], 1.0 op_sel_hi:[0,1,0] neg_lo:[1,0,0] neg_hi:[1,0,0]
	v_cndmask_b32_e64 v43, 0, v25, s[4:5]
	v_cndmask_b32_e32 v42, 0, v25, vcc
	v_pk_fma_f32 v[36:37], v[36:37], v[42:43], v[116:117]
	v_pk_fma_f32 v[42:43], v[20:21], v[40:41], 1.0 op_sel_hi:[0,1,0] neg_lo:[1,0,0] neg_hi:[1,0,0]
	v_cmp_lt_f32_e64 s[16:17], v40, v38
	v_cmp_lt_f32_e64 s[20:21], v41, v38
	v_cndmask_b32_e64 v43, v43, 1.0, s[4:5]
	v_cndmask_b32_e64 v42, v42, 1.0, vcc
	v_cndmask_b32_e64 v117, 0, 1.0, s[20:21]
	v_cndmask_b32_e64 v116, 0, 1.0, s[16:17]
	v_pk_mul_f32 v[42:43], v[116:117], v[42:43]
	v_pk_mul_f32 v[42:43], v[26:27], v[42:43] op_sel_hi:[0,1]
	v_cmp_lt_f32_e64 s[16:17], v41, v33
	v_cmp_lt_f32_e64 s[20:21], v40, v33
	v_cndmask_b32_e64 v43, v43, -|v43|, s[36:37]
	v_cndmask_b32_e64 v42, v42, -|v42|, s[36:37]
	s_and_b64 s[20:21], s[14:15], s[20:21]
	s_and_b64 s[16:17], s[14:15], s[16:17]
	v_pk_fma_f32 v[36:37], v[42:43], s[30:31], v[36:37] op_sel_hi:[1,0,1]
	v_pk_fma_f32 v[42:43], v[24:25], v[40:41], 1.0 op_sel_hi:[0,1,0] neg_lo:[1,0,0] neg_hi:[1,0,0]
	v_cndmask_b32_e64 v41, 0, 1.0, s[16:17]
	v_cndmask_b32_e64 v40, 0, 1.0, s[20:21]
	v_pk_mul_f32 v[40:41], v[0:1], v[40:41] op_sel_hi:[0,1]
	v_cndmask_b32_e64 v43, v43, 1.0, s[4:5]
	v_cndmask_b32_e64 v42, v42, 1.0, vcc
	v_pk_fma_f32 v[116:117], v[42:43], v[40:41], v[36:37]
	buffer_load_dword v36, off, s[0:3], 0 offset:3424 ; 4-byte Folded Reload
	buffer_load_dword v37, off, s[0:3], 0 offset:3428 ; 4-byte Folded Reload
	;; [unrolled: 1-line block ×6, first 2 shown]
	s_waitcnt vmcnt(4)
	v_pk_add_f32 v[36:37], v[36:37], v[4:5] op_sel_hi:[1,0] neg_lo:[0,1] neg_hi:[0,1]
	s_waitcnt vmcnt(2)
	v_pk_add_f32 v[40:41], v[40:41], v[4:5] op_sel:[0,1] neg_lo:[0,1] neg_hi:[0,1]
	v_pk_mul_f32 v[40:41], v[40:41], v[40:41]
	s_waitcnt vmcnt(0)
	v_pk_add_f32 v[42:43], v[42:43], v[6:7] op_sel_hi:[1,0] neg_lo:[0,1] neg_hi:[0,1]
	v_pk_fma_f32 v[36:37], v[36:37], v[36:37], v[40:41]
	v_pk_fma_f32 v[36:37], v[42:43], v[42:43], v[36:37]
	v_cmp_gt_f32_e32 vcc, s43, v37
	v_mul_f32_e32 v7, 0x4f800000, v37
	v_cndmask_b32_e32 v7, v37, v7, vcc
	v_sqrt_f32_e32 v37, v7
	v_add_u32_e32 v39, -1, v37
	v_fma_f32 v40, -v39, v37, v7
	v_cmp_ge_f32_e64 s[4:5], 0, v40
	v_add_u32_e32 v40, 1, v37
	v_cndmask_b32_e64 v39, v37, v39, s[4:5]
	v_fma_f32 v37, -v40, v37, v7
	v_cmp_lt_f32_e64 s[4:5], 0, v37
	v_cndmask_b32_e64 v37, v39, v40, s[4:5]
	v_mul_f32_e32 v39, 0x37800000, v37
	v_cndmask_b32_e32 v37, v37, v39, vcc
	v_cmp_class_f32_e32 vcc, v7, v21
	v_cndmask_b32_e32 v37, v37, v7, vcc
	v_cmp_gt_f32_e32 vcc, s43, v36
	v_mul_f32_e32 v7, 0x4f800000, v36
	v_cndmask_b32_e32 v7, v36, v7, vcc
	v_sqrt_f32_e32 v36, v7
	v_add_u32_e32 v39, -1, v36
	v_fma_f32 v40, -v39, v36, v7
	v_cmp_ge_f32_e64 s[4:5], 0, v40
	v_add_u32_e32 v40, 1, v36
	v_cndmask_b32_e64 v39, v36, v39, s[4:5]
	v_fma_f32 v36, -v40, v36, v7
	v_cmp_lt_f32_e64 s[4:5], 0, v36
	v_cndmask_b32_e64 v36, v39, v40, s[4:5]
	v_mul_f32_e32 v39, 0x37800000, v36
	v_cndmask_b32_e32 v36, v36, v39, vcc
	v_cmp_class_f32_e32 vcc, v7, v21
	v_cndmask_b32_e32 v36, v36, v7, vcc
	v_pk_add_f32 v[40:41], v[36:37], v[30:31] op_sel_hi:[1,0] neg_lo:[0,1] neg_hi:[0,1]
	v_cmp_gt_f32_e32 vcc, 0, v40
	v_cmp_gt_f32_e64 s[4:5], 0, v41
	v_pk_fma_f32 v[36:37], v[32:33], v[36:37], 1.0 op_sel_hi:[0,1,0] neg_lo:[1,0,0] neg_hi:[1,0,0]
	v_cndmask_b32_e64 v43, 0, v25, s[4:5]
	v_cndmask_b32_e32 v42, 0, v25, vcc
	v_pk_fma_f32 v[36:37], v[36:37], v[42:43], v[104:105]
	v_pk_fma_f32 v[42:43], v[20:21], v[40:41], 1.0 op_sel_hi:[0,1,0] neg_lo:[1,0,0] neg_hi:[1,0,0]
	v_cmp_lt_f32_e64 s[16:17], v40, v38
	v_cmp_lt_f32_e64 s[20:21], v41, v38
	v_cndmask_b32_e64 v43, v43, 1.0, s[4:5]
	v_cndmask_b32_e64 v42, v42, 1.0, vcc
	v_cndmask_b32_e64 v105, 0, 1.0, s[20:21]
	v_cndmask_b32_e64 v104, 0, 1.0, s[16:17]
	v_pk_mul_f32 v[42:43], v[104:105], v[42:43]
	v_pk_mul_f32 v[42:43], v[26:27], v[42:43] op_sel_hi:[0,1]
	v_cmp_lt_f32_e64 s[16:17], v41, v33
	v_cmp_lt_f32_e64 s[20:21], v40, v33
	v_cndmask_b32_e64 v43, v43, -|v43|, s[36:37]
	v_cndmask_b32_e64 v42, v42, -|v42|, s[36:37]
	s_and_b64 s[20:21], s[14:15], s[20:21]
	s_and_b64 s[16:17], s[14:15], s[16:17]
	v_pk_fma_f32 v[36:37], v[42:43], s[30:31], v[36:37] op_sel_hi:[1,0,1]
	v_pk_fma_f32 v[42:43], v[24:25], v[40:41], 1.0 op_sel_hi:[0,1,0] neg_lo:[1,0,0] neg_hi:[1,0,0]
	v_cndmask_b32_e64 v41, 0, 1.0, s[16:17]
	v_cndmask_b32_e64 v40, 0, 1.0, s[20:21]
	v_pk_mul_f32 v[40:41], v[0:1], v[40:41] op_sel_hi:[0,1]
	v_cndmask_b32_e64 v43, v43, 1.0, s[4:5]
	v_cndmask_b32_e64 v42, v42, 1.0, vcc
	v_pk_fma_f32 v[104:105], v[42:43], v[40:41], v[36:37]
	buffer_load_dword v36, off, s[0:3], 0 offset:3440 ; 4-byte Folded Reload
	buffer_load_dword v37, off, s[0:3], 0 offset:3444 ; 4-byte Folded Reload
	;; [unrolled: 1-line block ×6, first 2 shown]
	s_waitcnt vmcnt(4)
	v_pk_add_f32 v[36:37], v[36:37], v[4:5] op_sel_hi:[1,0] neg_lo:[0,1] neg_hi:[0,1]
	s_waitcnt vmcnt(2)
	v_pk_add_f32 v[40:41], v[40:41], v[4:5] op_sel:[0,1] neg_lo:[0,1] neg_hi:[0,1]
	v_pk_mul_f32 v[40:41], v[40:41], v[40:41]
	s_waitcnt vmcnt(0)
	v_pk_add_f32 v[42:43], v[42:43], v[6:7] op_sel_hi:[1,0] neg_lo:[0,1] neg_hi:[0,1]
	v_pk_fma_f32 v[36:37], v[36:37], v[36:37], v[40:41]
	v_pk_fma_f32 v[36:37], v[42:43], v[42:43], v[36:37]
	v_cmp_gt_f32_e32 vcc, s43, v37
	v_mul_f32_e32 v7, 0x4f800000, v37
	v_cndmask_b32_e32 v7, v37, v7, vcc
	v_sqrt_f32_e32 v37, v7
	v_add_u32_e32 v39, -1, v37
	v_fma_f32 v40, -v39, v37, v7
	v_cmp_ge_f32_e64 s[4:5], 0, v40
	v_add_u32_e32 v40, 1, v37
	v_cndmask_b32_e64 v39, v37, v39, s[4:5]
	v_fma_f32 v37, -v40, v37, v7
	v_cmp_lt_f32_e64 s[4:5], 0, v37
	v_cndmask_b32_e64 v37, v39, v40, s[4:5]
	v_mul_f32_e32 v39, 0x37800000, v37
	v_cndmask_b32_e32 v37, v37, v39, vcc
	v_cmp_class_f32_e32 vcc, v7, v21
	v_cndmask_b32_e32 v37, v37, v7, vcc
	v_cmp_gt_f32_e32 vcc, s43, v36
	v_mul_f32_e32 v7, 0x4f800000, v36
	v_cndmask_b32_e32 v7, v36, v7, vcc
	v_sqrt_f32_e32 v36, v7
	v_add_u32_e32 v39, -1, v36
	v_fma_f32 v40, -v39, v36, v7
	v_cmp_ge_f32_e64 s[4:5], 0, v40
	v_add_u32_e32 v40, 1, v36
	v_cndmask_b32_e64 v39, v36, v39, s[4:5]
	v_fma_f32 v36, -v40, v36, v7
	v_cmp_lt_f32_e64 s[4:5], 0, v36
	v_cndmask_b32_e64 v36, v39, v40, s[4:5]
	v_mul_f32_e32 v39, 0x37800000, v36
	v_cndmask_b32_e32 v36, v36, v39, vcc
	v_cmp_class_f32_e32 vcc, v7, v21
	v_cndmask_b32_e32 v36, v36, v7, vcc
	v_pk_add_f32 v[40:41], v[36:37], v[30:31] op_sel_hi:[1,0] neg_lo:[0,1] neg_hi:[0,1]
	v_cmp_gt_f32_e32 vcc, 0, v40
	v_cmp_gt_f32_e64 s[4:5], 0, v41
	v_pk_fma_f32 v[36:37], v[32:33], v[36:37], 1.0 op_sel_hi:[0,1,0] neg_lo:[1,0,0] neg_hi:[1,0,0]
	v_cndmask_b32_e64 v43, 0, v25, s[4:5]
	v_cndmask_b32_e32 v42, 0, v25, vcc
	v_pk_fma_f32 v[36:37], v[36:37], v[42:43], v[92:93]
	v_pk_fma_f32 v[42:43], v[20:21], v[40:41], 1.0 op_sel_hi:[0,1,0] neg_lo:[1,0,0] neg_hi:[1,0,0]
	v_cmp_lt_f32_e64 s[16:17], v40, v38
	v_cmp_lt_f32_e64 s[20:21], v41, v38
	v_cndmask_b32_e64 v43, v43, 1.0, s[4:5]
	v_cndmask_b32_e64 v42, v42, 1.0, vcc
	v_cndmask_b32_e64 v93, 0, 1.0, s[20:21]
	v_cndmask_b32_e64 v92, 0, 1.0, s[16:17]
	v_pk_mul_f32 v[42:43], v[92:93], v[42:43]
	v_pk_mul_f32 v[42:43], v[26:27], v[42:43] op_sel_hi:[0,1]
	v_cmp_lt_f32_e64 s[16:17], v41, v33
	v_cmp_lt_f32_e64 s[20:21], v40, v33
	v_cndmask_b32_e64 v43, v43, -|v43|, s[36:37]
	v_cndmask_b32_e64 v42, v42, -|v42|, s[36:37]
	s_and_b64 s[20:21], s[14:15], s[20:21]
	s_and_b64 s[16:17], s[14:15], s[16:17]
	v_pk_fma_f32 v[36:37], v[42:43], s[30:31], v[36:37] op_sel_hi:[1,0,1]
	v_pk_fma_f32 v[42:43], v[24:25], v[40:41], 1.0 op_sel_hi:[0,1,0] neg_lo:[1,0,0] neg_hi:[1,0,0]
	v_cndmask_b32_e64 v41, 0, 1.0, s[16:17]
	v_cndmask_b32_e64 v40, 0, 1.0, s[20:21]
	v_pk_mul_f32 v[40:41], v[0:1], v[40:41] op_sel_hi:[0,1]
	v_cndmask_b32_e64 v43, v43, 1.0, s[4:5]
	v_cndmask_b32_e64 v42, v42, 1.0, vcc
	v_pk_fma_f32 v[92:93], v[42:43], v[40:41], v[36:37]
	buffer_load_dword v36, off, s[0:3], 0 offset:3456 ; 4-byte Folded Reload
	buffer_load_dword v37, off, s[0:3], 0 offset:3460 ; 4-byte Folded Reload
	;; [unrolled: 1-line block ×6, first 2 shown]
	s_waitcnt vmcnt(4)
	v_pk_add_f32 v[36:37], v[36:37], v[4:5] op_sel_hi:[1,0] neg_lo:[0,1] neg_hi:[0,1]
	s_waitcnt vmcnt(2)
	v_pk_add_f32 v[40:41], v[40:41], v[4:5] op_sel:[0,1] neg_lo:[0,1] neg_hi:[0,1]
	v_pk_mul_f32 v[40:41], v[40:41], v[40:41]
	s_waitcnt vmcnt(0)
	v_pk_add_f32 v[42:43], v[42:43], v[6:7] op_sel_hi:[1,0] neg_lo:[0,1] neg_hi:[0,1]
	v_pk_fma_f32 v[36:37], v[36:37], v[36:37], v[40:41]
	v_pk_fma_f32 v[36:37], v[42:43], v[42:43], v[36:37]
	v_cmp_gt_f32_e32 vcc, s43, v37
	v_mul_f32_e32 v7, 0x4f800000, v37
	v_cndmask_b32_e32 v7, v37, v7, vcc
	v_sqrt_f32_e32 v37, v7
	v_add_u32_e32 v39, -1, v37
	v_fma_f32 v40, -v39, v37, v7
	v_cmp_ge_f32_e64 s[4:5], 0, v40
	v_add_u32_e32 v40, 1, v37
	v_cndmask_b32_e64 v39, v37, v39, s[4:5]
	v_fma_f32 v37, -v40, v37, v7
	v_cmp_lt_f32_e64 s[4:5], 0, v37
	v_cndmask_b32_e64 v37, v39, v40, s[4:5]
	v_mul_f32_e32 v39, 0x37800000, v37
	v_cndmask_b32_e32 v37, v37, v39, vcc
	v_cmp_class_f32_e32 vcc, v7, v21
	v_cndmask_b32_e32 v37, v37, v7, vcc
	v_cmp_gt_f32_e32 vcc, s43, v36
	v_mul_f32_e32 v7, 0x4f800000, v36
	v_cndmask_b32_e32 v7, v36, v7, vcc
	v_sqrt_f32_e32 v36, v7
	v_add_u32_e32 v39, -1, v36
	v_fma_f32 v40, -v39, v36, v7
	v_cmp_ge_f32_e64 s[4:5], 0, v40
	v_add_u32_e32 v40, 1, v36
	v_cndmask_b32_e64 v39, v36, v39, s[4:5]
	v_fma_f32 v36, -v40, v36, v7
	v_cmp_lt_f32_e64 s[4:5], 0, v36
	v_cndmask_b32_e64 v36, v39, v40, s[4:5]
	v_mul_f32_e32 v39, 0x37800000, v36
	v_cndmask_b32_e32 v36, v36, v39, vcc
	v_cmp_class_f32_e32 vcc, v7, v21
	v_cndmask_b32_e32 v36, v36, v7, vcc
	v_pk_add_f32 v[40:41], v[36:37], v[30:31] op_sel_hi:[1,0] neg_lo:[0,1] neg_hi:[0,1]
	v_cmp_gt_f32_e32 vcc, 0, v40
	v_cmp_gt_f32_e64 s[4:5], 0, v41
	v_pk_fma_f32 v[36:37], v[32:33], v[36:37], 1.0 op_sel_hi:[0,1,0] neg_lo:[1,0,0] neg_hi:[1,0,0]
	v_cndmask_b32_e64 v43, 0, v25, s[4:5]
	v_cndmask_b32_e32 v42, 0, v25, vcc
	v_pk_fma_f32 v[14:15], v[36:37], v[42:43], v[14:15]
	v_pk_fma_f32 v[36:37], v[20:21], v[40:41], 1.0 op_sel_hi:[0,1,0] neg_lo:[1,0,0] neg_hi:[1,0,0]
	v_cmp_lt_f32_e64 s[16:17], v40, v38
	v_cmp_lt_f32_e64 s[20:21], v41, v38
	v_cndmask_b32_e64 v37, v37, 1.0, s[4:5]
	v_cndmask_b32_e64 v36, v36, 1.0, vcc
	v_cndmask_b32_e64 v43, 0, 1.0, s[20:21]
	v_cndmask_b32_e64 v42, 0, 1.0, s[16:17]
	v_pk_mul_f32 v[36:37], v[42:43], v[36:37]
	v_pk_mul_f32 v[36:37], v[26:27], v[36:37] op_sel_hi:[0,1]
	v_cmp_lt_f32_e64 s[16:17], v41, v33
	v_cmp_lt_f32_e64 s[20:21], v40, v33
	v_cndmask_b32_e64 v37, v37, -|v37|, s[36:37]
	v_cndmask_b32_e64 v36, v36, -|v36|, s[36:37]
	s_and_b64 s[20:21], s[14:15], s[20:21]
	s_and_b64 s[16:17], s[14:15], s[16:17]
	v_pk_fma_f32 v[14:15], v[36:37], s[30:31], v[14:15] op_sel_hi:[1,0,1]
	v_pk_fma_f32 v[36:37], v[24:25], v[40:41], 1.0 op_sel_hi:[0,1,0] neg_lo:[1,0,0] neg_hi:[1,0,0]
	v_cndmask_b32_e64 v41, 0, 1.0, s[16:17]
	v_cndmask_b32_e64 v40, 0, 1.0, s[20:21]
	v_pk_mul_f32 v[40:41], v[0:1], v[40:41] op_sel_hi:[0,1]
	v_cndmask_b32_e64 v37, v37, 1.0, s[4:5]
	v_cndmask_b32_e64 v36, v36, 1.0, vcc
	v_pk_fma_f32 v[14:15], v[36:37], v[40:41], v[14:15]
	buffer_load_dword v36, off, s[0:3], 0 offset:3472 ; 4-byte Folded Reload
	buffer_load_dword v37, off, s[0:3], 0 offset:3476 ; 4-byte Folded Reload
	;; [unrolled: 1-line block ×6, first 2 shown]
	s_waitcnt vmcnt(4)
	v_pk_add_f32 v[36:37], v[36:37], v[4:5] op_sel_hi:[1,0] neg_lo:[0,1] neg_hi:[0,1]
	s_waitcnt vmcnt(2)
	v_pk_add_f32 v[40:41], v[40:41], v[4:5] op_sel:[0,1] neg_lo:[0,1] neg_hi:[0,1]
	v_pk_mul_f32 v[40:41], v[40:41], v[40:41]
	s_waitcnt vmcnt(0)
	v_pk_add_f32 v[42:43], v[42:43], v[6:7] op_sel_hi:[1,0] neg_lo:[0,1] neg_hi:[0,1]
	v_pk_fma_f32 v[36:37], v[36:37], v[36:37], v[40:41]
	v_pk_fma_f32 v[36:37], v[42:43], v[42:43], v[36:37]
	v_cmp_gt_f32_e32 vcc, s43, v37
	v_mul_f32_e32 v7, 0x4f800000, v37
	v_cndmask_b32_e32 v7, v37, v7, vcc
	v_sqrt_f32_e32 v37, v7
	v_add_u32_e32 v39, -1, v37
	v_fma_f32 v40, -v39, v37, v7
	v_cmp_ge_f32_e64 s[4:5], 0, v40
	v_add_u32_e32 v40, 1, v37
	v_cndmask_b32_e64 v39, v37, v39, s[4:5]
	v_fma_f32 v37, -v40, v37, v7
	v_cmp_lt_f32_e64 s[4:5], 0, v37
	v_cndmask_b32_e64 v37, v39, v40, s[4:5]
	v_mul_f32_e32 v39, 0x37800000, v37
	v_cndmask_b32_e32 v37, v37, v39, vcc
	v_cmp_class_f32_e32 vcc, v7, v21
	v_cndmask_b32_e32 v37, v37, v7, vcc
	v_cmp_gt_f32_e32 vcc, s43, v36
	v_mul_f32_e32 v7, 0x4f800000, v36
	v_cndmask_b32_e32 v7, v36, v7, vcc
	v_sqrt_f32_e32 v36, v7
	v_add_u32_e32 v39, -1, v36
	v_fma_f32 v40, -v39, v36, v7
	v_cmp_ge_f32_e64 s[4:5], 0, v40
	v_add_u32_e32 v40, 1, v36
	v_cndmask_b32_e64 v39, v36, v39, s[4:5]
	v_fma_f32 v36, -v40, v36, v7
	v_cmp_lt_f32_e64 s[4:5], 0, v36
	v_cndmask_b32_e64 v36, v39, v40, s[4:5]
	v_mul_f32_e32 v39, 0x37800000, v36
	v_cndmask_b32_e32 v36, v36, v39, vcc
	v_cmp_class_f32_e32 vcc, v7, v21
	v_cndmask_b32_e32 v36, v36, v7, vcc
	v_pk_add_f32 v[40:41], v[36:37], v[30:31] op_sel_hi:[1,0] neg_lo:[0,1] neg_hi:[0,1]
	v_cmp_gt_f32_e32 vcc, 0, v40
	v_cmp_gt_f32_e64 s[4:5], 0, v41
	v_pk_fma_f32 v[36:37], v[32:33], v[36:37], 1.0 op_sel_hi:[0,1,0] neg_lo:[1,0,0] neg_hi:[1,0,0]
	v_cndmask_b32_e64 v43, 0, v25, s[4:5]
	v_cndmask_b32_e32 v42, 0, v25, vcc
	v_pk_fma_f32 v[36:37], v[36:37], v[42:43], v[118:119]
	v_pk_fma_f32 v[42:43], v[20:21], v[40:41], 1.0 op_sel_hi:[0,1,0] neg_lo:[1,0,0] neg_hi:[1,0,0]
	v_cmp_lt_f32_e64 s[16:17], v40, v38
	v_cmp_lt_f32_e64 s[20:21], v41, v38
	v_cndmask_b32_e64 v43, v43, 1.0, s[4:5]
	v_cndmask_b32_e64 v42, v42, 1.0, vcc
	v_cndmask_b32_e64 v119, 0, 1.0, s[20:21]
	v_cndmask_b32_e64 v118, 0, 1.0, s[16:17]
	v_pk_mul_f32 v[42:43], v[118:119], v[42:43]
	v_pk_mul_f32 v[42:43], v[26:27], v[42:43] op_sel_hi:[0,1]
	v_cmp_lt_f32_e64 s[16:17], v41, v33
	v_cmp_lt_f32_e64 s[20:21], v40, v33
	v_cndmask_b32_e64 v43, v43, -|v43|, s[36:37]
	v_cndmask_b32_e64 v42, v42, -|v42|, s[36:37]
	s_and_b64 s[20:21], s[14:15], s[20:21]
	s_and_b64 s[16:17], s[14:15], s[16:17]
	v_pk_fma_f32 v[36:37], v[42:43], s[30:31], v[36:37] op_sel_hi:[1,0,1]
	v_pk_fma_f32 v[42:43], v[24:25], v[40:41], 1.0 op_sel_hi:[0,1,0] neg_lo:[1,0,0] neg_hi:[1,0,0]
	v_cndmask_b32_e64 v41, 0, 1.0, s[16:17]
	v_cndmask_b32_e64 v40, 0, 1.0, s[20:21]
	v_pk_mul_f32 v[40:41], v[0:1], v[40:41] op_sel_hi:[0,1]
	v_cndmask_b32_e64 v43, v43, 1.0, s[4:5]
	v_cndmask_b32_e64 v42, v42, 1.0, vcc
	v_pk_fma_f32 v[118:119], v[42:43], v[40:41], v[36:37]
	buffer_load_dword v36, off, s[0:3], 0 offset:3488 ; 4-byte Folded Reload
	buffer_load_dword v37, off, s[0:3], 0 offset:3492 ; 4-byte Folded Reload
	;; [unrolled: 1-line block ×6, first 2 shown]
	s_waitcnt vmcnt(4)
	v_pk_add_f32 v[36:37], v[36:37], v[4:5] op_sel_hi:[1,0] neg_lo:[0,1] neg_hi:[0,1]
	s_waitcnt vmcnt(2)
	v_pk_add_f32 v[40:41], v[40:41], v[4:5] op_sel:[0,1] neg_lo:[0,1] neg_hi:[0,1]
	v_pk_mul_f32 v[40:41], v[40:41], v[40:41]
	s_waitcnt vmcnt(0)
	v_pk_add_f32 v[42:43], v[42:43], v[6:7] op_sel_hi:[1,0] neg_lo:[0,1] neg_hi:[0,1]
	v_pk_fma_f32 v[36:37], v[36:37], v[36:37], v[40:41]
	v_pk_fma_f32 v[36:37], v[42:43], v[42:43], v[36:37]
	v_cmp_gt_f32_e32 vcc, s43, v37
	v_mul_f32_e32 v7, 0x4f800000, v37
	v_cndmask_b32_e32 v7, v37, v7, vcc
	v_sqrt_f32_e32 v37, v7
	v_add_u32_e32 v39, -1, v37
	v_fma_f32 v40, -v39, v37, v7
	v_cmp_ge_f32_e64 s[4:5], 0, v40
	v_add_u32_e32 v40, 1, v37
	v_cndmask_b32_e64 v39, v37, v39, s[4:5]
	v_fma_f32 v37, -v40, v37, v7
	v_cmp_lt_f32_e64 s[4:5], 0, v37
	v_cndmask_b32_e64 v37, v39, v40, s[4:5]
	v_mul_f32_e32 v39, 0x37800000, v37
	v_cndmask_b32_e32 v37, v37, v39, vcc
	v_cmp_class_f32_e32 vcc, v7, v21
	v_cndmask_b32_e32 v37, v37, v7, vcc
	v_cmp_gt_f32_e32 vcc, s43, v36
	v_mul_f32_e32 v7, 0x4f800000, v36
	v_cndmask_b32_e32 v7, v36, v7, vcc
	v_sqrt_f32_e32 v36, v7
	v_add_u32_e32 v39, -1, v36
	v_fma_f32 v40, -v39, v36, v7
	v_cmp_ge_f32_e64 s[4:5], 0, v40
	v_add_u32_e32 v40, 1, v36
	v_cndmask_b32_e64 v39, v36, v39, s[4:5]
	v_fma_f32 v36, -v40, v36, v7
	v_cmp_lt_f32_e64 s[4:5], 0, v36
	v_cndmask_b32_e64 v36, v39, v40, s[4:5]
	v_mul_f32_e32 v39, 0x37800000, v36
	v_cndmask_b32_e32 v36, v36, v39, vcc
	v_cmp_class_f32_e32 vcc, v7, v21
	v_cndmask_b32_e32 v36, v36, v7, vcc
	v_pk_add_f32 v[40:41], v[36:37], v[30:31] op_sel_hi:[1,0] neg_lo:[0,1] neg_hi:[0,1]
	v_cmp_gt_f32_e32 vcc, 0, v40
	v_cmp_gt_f32_e64 s[4:5], 0, v41
	v_pk_fma_f32 v[36:37], v[32:33], v[36:37], 1.0 op_sel_hi:[0,1,0] neg_lo:[1,0,0] neg_hi:[1,0,0]
	v_cndmask_b32_e64 v43, 0, v25, s[4:5]
	v_cndmask_b32_e32 v42, 0, v25, vcc
	v_pk_fma_f32 v[8:9], v[36:37], v[42:43], v[8:9]
	v_pk_fma_f32 v[36:37], v[20:21], v[40:41], 1.0 op_sel_hi:[0,1,0] neg_lo:[1,0,0] neg_hi:[1,0,0]
	v_cmp_lt_f32_e64 s[16:17], v40, v38
	v_cmp_lt_f32_e64 s[20:21], v41, v38
	v_cndmask_b32_e64 v37, v37, 1.0, s[4:5]
	v_cndmask_b32_e64 v36, v36, 1.0, vcc
	v_cndmask_b32_e64 v43, 0, 1.0, s[20:21]
	v_cndmask_b32_e64 v42, 0, 1.0, s[16:17]
	v_pk_mul_f32 v[36:37], v[42:43], v[36:37]
	v_pk_mul_f32 v[36:37], v[26:27], v[36:37] op_sel_hi:[0,1]
	v_cmp_lt_f32_e64 s[16:17], v41, v33
	v_cmp_lt_f32_e64 s[20:21], v40, v33
	v_cndmask_b32_e64 v37, v37, -|v37|, s[36:37]
	v_cndmask_b32_e64 v36, v36, -|v36|, s[36:37]
	s_and_b64 s[20:21], s[14:15], s[20:21]
	s_and_b64 s[16:17], s[14:15], s[16:17]
	v_pk_fma_f32 v[8:9], v[36:37], s[30:31], v[8:9] op_sel_hi:[1,0,1]
	v_pk_fma_f32 v[36:37], v[24:25], v[40:41], 1.0 op_sel_hi:[0,1,0] neg_lo:[1,0,0] neg_hi:[1,0,0]
	v_cndmask_b32_e64 v41, 0, 1.0, s[16:17]
	v_cndmask_b32_e64 v40, 0, 1.0, s[20:21]
	v_pk_mul_f32 v[40:41], v[0:1], v[40:41] op_sel_hi:[0,1]
	v_cndmask_b32_e64 v37, v37, 1.0, s[4:5]
	v_cndmask_b32_e64 v36, v36, 1.0, vcc
	v_pk_fma_f32 v[8:9], v[36:37], v[40:41], v[8:9]
	buffer_load_dword v36, off, s[0:3], 0 offset:3504 ; 4-byte Folded Reload
	buffer_load_dword v37, off, s[0:3], 0 offset:3508 ; 4-byte Folded Reload
	;; [unrolled: 1-line block ×6, first 2 shown]
	s_waitcnt vmcnt(4)
	v_pk_add_f32 v[36:37], v[36:37], v[4:5] op_sel_hi:[1,0] neg_lo:[0,1] neg_hi:[0,1]
	s_waitcnt vmcnt(2)
	v_pk_add_f32 v[40:41], v[40:41], v[4:5] op_sel:[0,1] neg_lo:[0,1] neg_hi:[0,1]
	v_pk_mul_f32 v[40:41], v[40:41], v[40:41]
	s_waitcnt vmcnt(0)
	v_pk_add_f32 v[42:43], v[42:43], v[6:7] op_sel_hi:[1,0] neg_lo:[0,1] neg_hi:[0,1]
	v_pk_fma_f32 v[36:37], v[36:37], v[36:37], v[40:41]
	v_pk_fma_f32 v[36:37], v[42:43], v[42:43], v[36:37]
	v_cmp_gt_f32_e32 vcc, s43, v37
	v_mul_f32_e32 v7, 0x4f800000, v37
	v_cndmask_b32_e32 v7, v37, v7, vcc
	v_sqrt_f32_e32 v37, v7
	v_add_u32_e32 v39, -1, v37
	v_fma_f32 v40, -v39, v37, v7
	v_cmp_ge_f32_e64 s[4:5], 0, v40
	v_add_u32_e32 v40, 1, v37
	v_cndmask_b32_e64 v39, v37, v39, s[4:5]
	v_fma_f32 v37, -v40, v37, v7
	v_cmp_lt_f32_e64 s[4:5], 0, v37
	v_cndmask_b32_e64 v37, v39, v40, s[4:5]
	v_mul_f32_e32 v39, 0x37800000, v37
	v_cndmask_b32_e32 v37, v37, v39, vcc
	v_cmp_class_f32_e32 vcc, v7, v21
	v_cndmask_b32_e32 v37, v37, v7, vcc
	v_cmp_gt_f32_e32 vcc, s43, v36
	v_mul_f32_e32 v7, 0x4f800000, v36
	v_cndmask_b32_e32 v7, v36, v7, vcc
	v_sqrt_f32_e32 v36, v7
	v_add_u32_e32 v39, -1, v36
	v_fma_f32 v40, -v39, v36, v7
	v_cmp_ge_f32_e64 s[4:5], 0, v40
	v_add_u32_e32 v40, 1, v36
	v_cndmask_b32_e64 v39, v36, v39, s[4:5]
	v_fma_f32 v36, -v40, v36, v7
	v_cmp_lt_f32_e64 s[4:5], 0, v36
	v_cndmask_b32_e64 v36, v39, v40, s[4:5]
	v_mul_f32_e32 v39, 0x37800000, v36
	v_cndmask_b32_e32 v36, v36, v39, vcc
	v_cmp_class_f32_e32 vcc, v7, v21
	v_cndmask_b32_e32 v36, v36, v7, vcc
	v_pk_add_f32 v[40:41], v[36:37], v[30:31] op_sel_hi:[1,0] neg_lo:[0,1] neg_hi:[0,1]
	v_cmp_gt_f32_e32 vcc, 0, v40
	v_cmp_gt_f32_e64 s[4:5], 0, v41
	v_pk_fma_f32 v[36:37], v[32:33], v[36:37], 1.0 op_sel_hi:[0,1,0] neg_lo:[1,0,0] neg_hi:[1,0,0]
	v_cndmask_b32_e64 v43, 0, v25, s[4:5]
	v_cndmask_b32_e32 v42, 0, v25, vcc
	v_pk_fma_f32 v[36:37], v[36:37], v[42:43], v[94:95]
	v_pk_fma_f32 v[42:43], v[20:21], v[40:41], 1.0 op_sel_hi:[0,1,0] neg_lo:[1,0,0] neg_hi:[1,0,0]
	v_cmp_lt_f32_e64 s[16:17], v40, v38
	v_cmp_lt_f32_e64 s[20:21], v41, v38
	v_cndmask_b32_e64 v43, v43, 1.0, s[4:5]
	v_cndmask_b32_e64 v42, v42, 1.0, vcc
	v_cndmask_b32_e64 v95, 0, 1.0, s[20:21]
	v_cndmask_b32_e64 v94, 0, 1.0, s[16:17]
	v_pk_mul_f32 v[42:43], v[94:95], v[42:43]
	v_pk_mul_f32 v[42:43], v[26:27], v[42:43] op_sel_hi:[0,1]
	v_cmp_lt_f32_e64 s[16:17], v41, v33
	v_cmp_lt_f32_e64 s[20:21], v40, v33
	v_cndmask_b32_e64 v43, v43, -|v43|, s[36:37]
	v_cndmask_b32_e64 v42, v42, -|v42|, s[36:37]
	s_and_b64 s[20:21], s[14:15], s[20:21]
	s_and_b64 s[16:17], s[14:15], s[16:17]
	v_pk_fma_f32 v[36:37], v[42:43], s[30:31], v[36:37] op_sel_hi:[1,0,1]
	v_pk_fma_f32 v[42:43], v[24:25], v[40:41], 1.0 op_sel_hi:[0,1,0] neg_lo:[1,0,0] neg_hi:[1,0,0]
	v_cndmask_b32_e64 v41, 0, 1.0, s[16:17]
	v_cndmask_b32_e64 v40, 0, 1.0, s[20:21]
	v_pk_mul_f32 v[40:41], v[0:1], v[40:41] op_sel_hi:[0,1]
	v_cndmask_b32_e64 v43, v43, 1.0, s[4:5]
	v_cndmask_b32_e64 v42, v42, 1.0, vcc
	v_pk_fma_f32 v[94:95], v[42:43], v[40:41], v[36:37]
	buffer_load_dword v36, off, s[0:3], 0 offset:3520 ; 4-byte Folded Reload
	buffer_load_dword v37, off, s[0:3], 0 offset:3524 ; 4-byte Folded Reload
	;; [unrolled: 1-line block ×6, first 2 shown]
	s_waitcnt vmcnt(4)
	v_pk_add_f32 v[36:37], v[36:37], v[4:5] op_sel_hi:[1,0] neg_lo:[0,1] neg_hi:[0,1]
	s_waitcnt vmcnt(2)
	v_pk_add_f32 v[40:41], v[40:41], v[4:5] op_sel:[0,1] neg_lo:[0,1] neg_hi:[0,1]
	v_pk_mul_f32 v[40:41], v[40:41], v[40:41]
	s_waitcnt vmcnt(0)
	v_pk_add_f32 v[42:43], v[42:43], v[6:7] op_sel_hi:[1,0] neg_lo:[0,1] neg_hi:[0,1]
	v_pk_fma_f32 v[36:37], v[36:37], v[36:37], v[40:41]
	v_pk_fma_f32 v[36:37], v[42:43], v[42:43], v[36:37]
	v_cmp_gt_f32_e32 vcc, s43, v37
	v_mul_f32_e32 v7, 0x4f800000, v37
	v_cndmask_b32_e32 v7, v37, v7, vcc
	v_sqrt_f32_e32 v37, v7
	v_add_u32_e32 v39, -1, v37
	v_fma_f32 v40, -v39, v37, v7
	v_cmp_ge_f32_e64 s[4:5], 0, v40
	v_add_u32_e32 v40, 1, v37
	v_cndmask_b32_e64 v39, v37, v39, s[4:5]
	v_fma_f32 v37, -v40, v37, v7
	v_cmp_lt_f32_e64 s[4:5], 0, v37
	v_cndmask_b32_e64 v37, v39, v40, s[4:5]
	v_mul_f32_e32 v39, 0x37800000, v37
	v_cndmask_b32_e32 v37, v37, v39, vcc
	v_cmp_class_f32_e32 vcc, v7, v21
	v_cndmask_b32_e32 v37, v37, v7, vcc
	v_cmp_gt_f32_e32 vcc, s43, v36
	v_mul_f32_e32 v7, 0x4f800000, v36
	v_cndmask_b32_e32 v7, v36, v7, vcc
	v_sqrt_f32_e32 v36, v7
	v_add_u32_e32 v39, -1, v36
	v_fma_f32 v40, -v39, v36, v7
	v_cmp_ge_f32_e64 s[4:5], 0, v40
	v_add_u32_e32 v40, 1, v36
	v_cndmask_b32_e64 v39, v36, v39, s[4:5]
	v_fma_f32 v36, -v40, v36, v7
	v_cmp_lt_f32_e64 s[4:5], 0, v36
	v_cndmask_b32_e64 v36, v39, v40, s[4:5]
	v_mul_f32_e32 v39, 0x37800000, v36
	v_cndmask_b32_e32 v36, v36, v39, vcc
	v_cmp_class_f32_e32 vcc, v7, v21
	v_cndmask_b32_e32 v36, v36, v7, vcc
	v_pk_add_f32 v[40:41], v[36:37], v[30:31] op_sel_hi:[1,0] neg_lo:[0,1] neg_hi:[0,1]
	v_cmp_gt_f32_e32 vcc, 0, v40
	v_cmp_gt_f32_e64 s[4:5], 0, v41
	v_pk_fma_f32 v[36:37], v[32:33], v[36:37], 1.0 op_sel_hi:[0,1,0] neg_lo:[1,0,0] neg_hi:[1,0,0]
	v_cndmask_b32_e64 v43, 0, v25, s[4:5]
	v_cndmask_b32_e32 v42, 0, v25, vcc
	v_pk_fma_f32 v[16:17], v[36:37], v[42:43], v[16:17]
	v_pk_fma_f32 v[36:37], v[20:21], v[40:41], 1.0 op_sel_hi:[0,1,0] neg_lo:[1,0,0] neg_hi:[1,0,0]
	v_cmp_lt_f32_e64 s[16:17], v40, v38
	v_cmp_lt_f32_e64 s[20:21], v41, v38
	v_cndmask_b32_e64 v37, v37, 1.0, s[4:5]
	v_cndmask_b32_e64 v36, v36, 1.0, vcc
	v_cndmask_b32_e64 v43, 0, 1.0, s[20:21]
	v_cndmask_b32_e64 v42, 0, 1.0, s[16:17]
	v_pk_mul_f32 v[36:37], v[42:43], v[36:37]
	v_pk_mul_f32 v[36:37], v[26:27], v[36:37] op_sel_hi:[0,1]
	v_cmp_lt_f32_e64 s[16:17], v41, v33
	v_cmp_lt_f32_e64 s[20:21], v40, v33
	v_cndmask_b32_e64 v37, v37, -|v37|, s[36:37]
	v_cndmask_b32_e64 v36, v36, -|v36|, s[36:37]
	s_and_b64 s[20:21], s[14:15], s[20:21]
	s_and_b64 s[16:17], s[14:15], s[16:17]
	v_pk_fma_f32 v[16:17], v[36:37], s[30:31], v[16:17] op_sel_hi:[1,0,1]
	v_pk_fma_f32 v[36:37], v[24:25], v[40:41], 1.0 op_sel_hi:[0,1,0] neg_lo:[1,0,0] neg_hi:[1,0,0]
	v_cndmask_b32_e64 v41, 0, 1.0, s[16:17]
	v_cndmask_b32_e64 v40, 0, 1.0, s[20:21]
	v_pk_mul_f32 v[40:41], v[0:1], v[40:41] op_sel_hi:[0,1]
	v_cndmask_b32_e64 v37, v37, 1.0, s[4:5]
	v_cndmask_b32_e64 v36, v36, 1.0, vcc
	v_pk_fma_f32 v[16:17], v[36:37], v[40:41], v[16:17]
	buffer_load_dword v36, off, s[0:3], 0 offset:3536 ; 4-byte Folded Reload
	buffer_load_dword v37, off, s[0:3], 0 offset:3540 ; 4-byte Folded Reload
	;; [unrolled: 1-line block ×6, first 2 shown]
	s_waitcnt vmcnt(4)
	v_pk_add_f32 v[36:37], v[36:37], v[4:5] op_sel_hi:[1,0] neg_lo:[0,1] neg_hi:[0,1]
	s_waitcnt vmcnt(2)
	v_pk_add_f32 v[40:41], v[40:41], v[4:5] op_sel:[0,1] neg_lo:[0,1] neg_hi:[0,1]
	v_pk_mul_f32 v[40:41], v[40:41], v[40:41]
	s_waitcnt vmcnt(0)
	v_pk_add_f32 v[42:43], v[42:43], v[6:7] op_sel_hi:[1,0] neg_lo:[0,1] neg_hi:[0,1]
	v_pk_fma_f32 v[36:37], v[36:37], v[36:37], v[40:41]
	v_pk_fma_f32 v[36:37], v[42:43], v[42:43], v[36:37]
	v_cmp_gt_f32_e32 vcc, s43, v37
	v_mul_f32_e32 v7, 0x4f800000, v37
	v_cndmask_b32_e32 v7, v37, v7, vcc
	v_sqrt_f32_e32 v37, v7
	v_add_u32_e32 v39, -1, v37
	v_fma_f32 v40, -v39, v37, v7
	v_cmp_ge_f32_e64 s[4:5], 0, v40
	v_add_u32_e32 v40, 1, v37
	v_cndmask_b32_e64 v39, v37, v39, s[4:5]
	v_fma_f32 v37, -v40, v37, v7
	v_cmp_lt_f32_e64 s[4:5], 0, v37
	v_cndmask_b32_e64 v37, v39, v40, s[4:5]
	v_mul_f32_e32 v39, 0x37800000, v37
	v_cndmask_b32_e32 v37, v37, v39, vcc
	v_cmp_class_f32_e32 vcc, v7, v21
	v_cndmask_b32_e32 v37, v37, v7, vcc
	v_cmp_gt_f32_e32 vcc, s43, v36
	v_mul_f32_e32 v7, 0x4f800000, v36
	v_cndmask_b32_e32 v7, v36, v7, vcc
	v_sqrt_f32_e32 v36, v7
	v_add_u32_e32 v39, -1, v36
	v_fma_f32 v40, -v39, v36, v7
	v_cmp_ge_f32_e64 s[4:5], 0, v40
	v_add_u32_e32 v40, 1, v36
	v_cndmask_b32_e64 v39, v36, v39, s[4:5]
	v_fma_f32 v36, -v40, v36, v7
	v_cmp_lt_f32_e64 s[4:5], 0, v36
	v_cndmask_b32_e64 v36, v39, v40, s[4:5]
	v_mul_f32_e32 v39, 0x37800000, v36
	v_cndmask_b32_e32 v36, v36, v39, vcc
	v_cmp_class_f32_e32 vcc, v7, v21
	v_cndmask_b32_e32 v36, v36, v7, vcc
	v_pk_add_f32 v[40:41], v[36:37], v[30:31] op_sel_hi:[1,0] neg_lo:[0,1] neg_hi:[0,1]
	v_cmp_gt_f32_e32 vcc, 0, v40
	v_cmp_gt_f32_e64 s[4:5], 0, v41
	v_pk_fma_f32 v[36:37], v[32:33], v[36:37], 1.0 op_sel_hi:[0,1,0] neg_lo:[1,0,0] neg_hi:[1,0,0]
	v_cndmask_b32_e64 v43, 0, v25, s[4:5]
	v_cndmask_b32_e32 v42, 0, v25, vcc
	v_pk_fma_f32 v[36:37], v[36:37], v[42:43], v[120:121]
	v_pk_fma_f32 v[42:43], v[20:21], v[40:41], 1.0 op_sel_hi:[0,1,0] neg_lo:[1,0,0] neg_hi:[1,0,0]
	v_cmp_lt_f32_e64 s[16:17], v40, v38
	v_cmp_lt_f32_e64 s[20:21], v41, v38
	v_cndmask_b32_e64 v43, v43, 1.0, s[4:5]
	v_cndmask_b32_e64 v42, v42, 1.0, vcc
	v_cndmask_b32_e64 v121, 0, 1.0, s[20:21]
	v_cndmask_b32_e64 v120, 0, 1.0, s[16:17]
	v_pk_mul_f32 v[42:43], v[120:121], v[42:43]
	v_pk_mul_f32 v[42:43], v[26:27], v[42:43] op_sel_hi:[0,1]
	v_cmp_lt_f32_e64 s[16:17], v41, v33
	v_cmp_lt_f32_e64 s[20:21], v40, v33
	v_cndmask_b32_e64 v43, v43, -|v43|, s[36:37]
	v_cndmask_b32_e64 v42, v42, -|v42|, s[36:37]
	s_and_b64 s[20:21], s[14:15], s[20:21]
	s_and_b64 s[16:17], s[14:15], s[16:17]
	v_pk_fma_f32 v[36:37], v[42:43], s[30:31], v[36:37] op_sel_hi:[1,0,1]
	v_pk_fma_f32 v[42:43], v[24:25], v[40:41], 1.0 op_sel_hi:[0,1,0] neg_lo:[1,0,0] neg_hi:[1,0,0]
	v_cndmask_b32_e64 v41, 0, 1.0, s[16:17]
	v_cndmask_b32_e64 v40, 0, 1.0, s[20:21]
	v_pk_mul_f32 v[40:41], v[0:1], v[40:41] op_sel_hi:[0,1]
	v_cndmask_b32_e64 v43, v43, 1.0, s[4:5]
	v_cndmask_b32_e64 v42, v42, 1.0, vcc
	v_pk_fma_f32 v[120:121], v[42:43], v[40:41], v[36:37]
	buffer_load_dword v36, off, s[0:3], 0 offset:3552 ; 4-byte Folded Reload
	buffer_load_dword v37, off, s[0:3], 0 offset:3556 ; 4-byte Folded Reload
	;; [unrolled: 1-line block ×6, first 2 shown]
	s_waitcnt vmcnt(4)
	v_pk_add_f32 v[36:37], v[36:37], v[4:5] op_sel_hi:[1,0] neg_lo:[0,1] neg_hi:[0,1]
	s_waitcnt vmcnt(2)
	v_pk_add_f32 v[40:41], v[40:41], v[4:5] op_sel:[0,1] neg_lo:[0,1] neg_hi:[0,1]
	v_pk_mul_f32 v[40:41], v[40:41], v[40:41]
	s_waitcnt vmcnt(0)
	v_pk_add_f32 v[42:43], v[42:43], v[6:7] op_sel_hi:[1,0] neg_lo:[0,1] neg_hi:[0,1]
	v_pk_fma_f32 v[36:37], v[36:37], v[36:37], v[40:41]
	v_pk_fma_f32 v[36:37], v[42:43], v[42:43], v[36:37]
	v_cmp_gt_f32_e32 vcc, s43, v37
	v_mul_f32_e32 v7, 0x4f800000, v37
	v_cndmask_b32_e32 v7, v37, v7, vcc
	v_sqrt_f32_e32 v37, v7
	v_add_u32_e32 v39, -1, v37
	v_fma_f32 v40, -v39, v37, v7
	v_cmp_ge_f32_e64 s[4:5], 0, v40
	v_add_u32_e32 v40, 1, v37
	v_cndmask_b32_e64 v39, v37, v39, s[4:5]
	v_fma_f32 v37, -v40, v37, v7
	v_cmp_lt_f32_e64 s[4:5], 0, v37
	v_cndmask_b32_e64 v37, v39, v40, s[4:5]
	v_mul_f32_e32 v39, 0x37800000, v37
	v_cndmask_b32_e32 v37, v37, v39, vcc
	v_cmp_class_f32_e32 vcc, v7, v21
	v_cndmask_b32_e32 v37, v37, v7, vcc
	v_cmp_gt_f32_e32 vcc, s43, v36
	v_mul_f32_e32 v7, 0x4f800000, v36
	v_cndmask_b32_e32 v7, v36, v7, vcc
	v_sqrt_f32_e32 v36, v7
	v_add_u32_e32 v39, -1, v36
	v_fma_f32 v40, -v39, v36, v7
	v_cmp_ge_f32_e64 s[4:5], 0, v40
	v_add_u32_e32 v40, 1, v36
	v_cndmask_b32_e64 v39, v36, v39, s[4:5]
	v_fma_f32 v36, -v40, v36, v7
	v_cmp_lt_f32_e64 s[4:5], 0, v36
	v_cndmask_b32_e64 v36, v39, v40, s[4:5]
	v_mul_f32_e32 v39, 0x37800000, v36
	v_cndmask_b32_e32 v36, v36, v39, vcc
	v_cmp_class_f32_e32 vcc, v7, v21
	v_cndmask_b32_e32 v36, v36, v7, vcc
	v_pk_add_f32 v[40:41], v[36:37], v[30:31] op_sel_hi:[1,0] neg_lo:[0,1] neg_hi:[0,1]
	v_cmp_gt_f32_e32 vcc, 0, v40
	v_cmp_gt_f32_e64 s[4:5], 0, v41
	v_pk_fma_f32 v[36:37], v[32:33], v[36:37], 1.0 op_sel_hi:[0,1,0] neg_lo:[1,0,0] neg_hi:[1,0,0]
	v_cndmask_b32_e64 v43, 0, v25, s[4:5]
	v_cndmask_b32_e32 v42, 0, v25, vcc
	v_pk_fma_f32 v[36:37], v[36:37], v[42:43], v[108:109]
	v_pk_fma_f32 v[42:43], v[20:21], v[40:41], 1.0 op_sel_hi:[0,1,0] neg_lo:[1,0,0] neg_hi:[1,0,0]
	v_cmp_lt_f32_e64 s[16:17], v40, v38
	v_cmp_lt_f32_e64 s[20:21], v41, v38
	v_cndmask_b32_e64 v43, v43, 1.0, s[4:5]
	v_cndmask_b32_e64 v42, v42, 1.0, vcc
	v_cndmask_b32_e64 v109, 0, 1.0, s[20:21]
	v_cndmask_b32_e64 v108, 0, 1.0, s[16:17]
	v_pk_mul_f32 v[42:43], v[108:109], v[42:43]
	v_pk_mul_f32 v[42:43], v[26:27], v[42:43] op_sel_hi:[0,1]
	v_cmp_lt_f32_e64 s[16:17], v41, v33
	v_cmp_lt_f32_e64 s[20:21], v40, v33
	v_cndmask_b32_e64 v43, v43, -|v43|, s[36:37]
	v_cndmask_b32_e64 v42, v42, -|v42|, s[36:37]
	s_and_b64 s[20:21], s[14:15], s[20:21]
	s_and_b64 s[16:17], s[14:15], s[16:17]
	v_pk_fma_f32 v[36:37], v[42:43], s[30:31], v[36:37] op_sel_hi:[1,0,1]
	v_pk_fma_f32 v[42:43], v[24:25], v[40:41], 1.0 op_sel_hi:[0,1,0] neg_lo:[1,0,0] neg_hi:[1,0,0]
	v_cndmask_b32_e64 v41, 0, 1.0, s[16:17]
	v_cndmask_b32_e64 v40, 0, 1.0, s[20:21]
	v_pk_mul_f32 v[40:41], v[0:1], v[40:41] op_sel_hi:[0,1]
	v_cndmask_b32_e64 v43, v43, 1.0, s[4:5]
	v_cndmask_b32_e64 v42, v42, 1.0, vcc
	v_pk_fma_f32 v[108:109], v[42:43], v[40:41], v[36:37]
	buffer_load_dword v36, off, s[0:3], 0 offset:3568 ; 4-byte Folded Reload
	buffer_load_dword v37, off, s[0:3], 0 offset:3572 ; 4-byte Folded Reload
	;; [unrolled: 1-line block ×6, first 2 shown]
	s_waitcnt vmcnt(4)
	v_pk_add_f32 v[36:37], v[36:37], v[4:5] op_sel_hi:[1,0] neg_lo:[0,1] neg_hi:[0,1]
	s_waitcnt vmcnt(2)
	v_pk_add_f32 v[40:41], v[40:41], v[4:5] op_sel:[0,1] neg_lo:[0,1] neg_hi:[0,1]
	v_pk_mul_f32 v[40:41], v[40:41], v[40:41]
	s_waitcnt vmcnt(0)
	v_pk_add_f32 v[42:43], v[42:43], v[6:7] op_sel_hi:[1,0] neg_lo:[0,1] neg_hi:[0,1]
	v_pk_fma_f32 v[36:37], v[36:37], v[36:37], v[40:41]
	v_pk_fma_f32 v[36:37], v[42:43], v[42:43], v[36:37]
	v_cmp_gt_f32_e32 vcc, s43, v37
	v_mul_f32_e32 v7, 0x4f800000, v37
	v_cndmask_b32_e32 v7, v37, v7, vcc
	v_sqrt_f32_e32 v37, v7
	v_add_u32_e32 v39, -1, v37
	v_fma_f32 v40, -v39, v37, v7
	v_cmp_ge_f32_e64 s[4:5], 0, v40
	v_add_u32_e32 v40, 1, v37
	v_cndmask_b32_e64 v39, v37, v39, s[4:5]
	v_fma_f32 v37, -v40, v37, v7
	v_cmp_lt_f32_e64 s[4:5], 0, v37
	v_cndmask_b32_e64 v37, v39, v40, s[4:5]
	v_mul_f32_e32 v39, 0x37800000, v37
	v_cndmask_b32_e32 v37, v37, v39, vcc
	v_cmp_class_f32_e32 vcc, v7, v21
	v_cndmask_b32_e32 v37, v37, v7, vcc
	v_cmp_gt_f32_e32 vcc, s43, v36
	v_mul_f32_e32 v7, 0x4f800000, v36
	v_cndmask_b32_e32 v7, v36, v7, vcc
	v_sqrt_f32_e32 v36, v7
	v_add_u32_e32 v39, -1, v36
	v_fma_f32 v40, -v39, v36, v7
	v_cmp_ge_f32_e64 s[4:5], 0, v40
	v_add_u32_e32 v40, 1, v36
	v_cndmask_b32_e64 v39, v36, v39, s[4:5]
	v_fma_f32 v36, -v40, v36, v7
	v_cmp_lt_f32_e64 s[4:5], 0, v36
	v_cndmask_b32_e64 v36, v39, v40, s[4:5]
	v_mul_f32_e32 v39, 0x37800000, v36
	v_cndmask_b32_e32 v36, v36, v39, vcc
	v_cmp_class_f32_e32 vcc, v7, v21
	v_cndmask_b32_e32 v36, v36, v7, vcc
	v_pk_add_f32 v[40:41], v[36:37], v[30:31] op_sel_hi:[1,0] neg_lo:[0,1] neg_hi:[0,1]
	v_cmp_gt_f32_e32 vcc, 0, v40
	v_cmp_gt_f32_e64 s[4:5], 0, v41
	v_pk_fma_f32 v[36:37], v[32:33], v[36:37], 1.0 op_sel_hi:[0,1,0] neg_lo:[1,0,0] neg_hi:[1,0,0]
	v_cndmask_b32_e64 v43, 0, v25, s[4:5]
	v_cndmask_b32_e32 v42, 0, v25, vcc
	v_pk_fma_f32 v[36:37], v[36:37], v[42:43], v[98:99]
	v_pk_fma_f32 v[42:43], v[20:21], v[40:41], 1.0 op_sel_hi:[0,1,0] neg_lo:[1,0,0] neg_hi:[1,0,0]
	v_cmp_lt_f32_e64 s[16:17], v40, v38
	v_cmp_lt_f32_e64 s[20:21], v41, v38
	v_cndmask_b32_e64 v43, v43, 1.0, s[4:5]
	v_cndmask_b32_e64 v42, v42, 1.0, vcc
	v_cndmask_b32_e64 v99, 0, 1.0, s[20:21]
	v_cndmask_b32_e64 v98, 0, 1.0, s[16:17]
	v_pk_mul_f32 v[42:43], v[98:99], v[42:43]
	v_pk_mul_f32 v[42:43], v[26:27], v[42:43] op_sel_hi:[0,1]
	v_cmp_lt_f32_e64 s[16:17], v41, v33
	v_cmp_lt_f32_e64 s[20:21], v40, v33
	v_cndmask_b32_e64 v43, v43, -|v43|, s[36:37]
	v_cndmask_b32_e64 v42, v42, -|v42|, s[36:37]
	s_and_b64 s[20:21], s[14:15], s[20:21]
	s_and_b64 s[16:17], s[14:15], s[16:17]
	v_pk_fma_f32 v[36:37], v[42:43], s[30:31], v[36:37] op_sel_hi:[1,0,1]
	v_pk_fma_f32 v[42:43], v[24:25], v[40:41], 1.0 op_sel_hi:[0,1,0] neg_lo:[1,0,0] neg_hi:[1,0,0]
	v_cndmask_b32_e64 v41, 0, 1.0, s[16:17]
	v_cndmask_b32_e64 v40, 0, 1.0, s[20:21]
	v_pk_mul_f32 v[40:41], v[0:1], v[40:41] op_sel_hi:[0,1]
	v_cndmask_b32_e64 v43, v43, 1.0, s[4:5]
	v_cndmask_b32_e64 v42, v42, 1.0, vcc
	v_pk_fma_f32 v[98:99], v[42:43], v[40:41], v[36:37]
	buffer_load_dword v36, off, s[0:3], 0 offset:3584 ; 4-byte Folded Reload
	buffer_load_dword v37, off, s[0:3], 0 offset:3588 ; 4-byte Folded Reload
	;; [unrolled: 1-line block ×6, first 2 shown]
	s_waitcnt vmcnt(4)
	v_pk_add_f32 v[36:37], v[36:37], v[4:5] op_sel_hi:[1,0] neg_lo:[0,1] neg_hi:[0,1]
	s_waitcnt vmcnt(2)
	v_pk_add_f32 v[40:41], v[40:41], v[4:5] op_sel:[0,1] neg_lo:[0,1] neg_hi:[0,1]
	v_pk_mul_f32 v[40:41], v[40:41], v[40:41]
	s_waitcnt vmcnt(0)
	v_pk_add_f32 v[42:43], v[42:43], v[6:7] op_sel_hi:[1,0] neg_lo:[0,1] neg_hi:[0,1]
	v_pk_fma_f32 v[36:37], v[36:37], v[36:37], v[40:41]
	v_pk_fma_f32 v[36:37], v[42:43], v[42:43], v[36:37]
	v_cmp_gt_f32_e32 vcc, s43, v37
	v_mul_f32_e32 v7, 0x4f800000, v37
	v_cndmask_b32_e32 v7, v37, v7, vcc
	v_sqrt_f32_e32 v37, v7
	v_add_u32_e32 v39, -1, v37
	v_fma_f32 v40, -v39, v37, v7
	v_cmp_ge_f32_e64 s[4:5], 0, v40
	v_add_u32_e32 v40, 1, v37
	v_cndmask_b32_e64 v39, v37, v39, s[4:5]
	v_fma_f32 v37, -v40, v37, v7
	v_cmp_lt_f32_e64 s[4:5], 0, v37
	v_cndmask_b32_e64 v37, v39, v40, s[4:5]
	v_mul_f32_e32 v39, 0x37800000, v37
	v_cndmask_b32_e32 v37, v37, v39, vcc
	v_cmp_class_f32_e32 vcc, v7, v21
	v_cndmask_b32_e32 v37, v37, v7, vcc
	v_cmp_gt_f32_e32 vcc, s43, v36
	v_mul_f32_e32 v7, 0x4f800000, v36
	v_cndmask_b32_e32 v7, v36, v7, vcc
	v_sqrt_f32_e32 v36, v7
	v_add_u32_e32 v39, -1, v36
	v_fma_f32 v40, -v39, v36, v7
	v_cmp_ge_f32_e64 s[4:5], 0, v40
	v_add_u32_e32 v40, 1, v36
	v_cndmask_b32_e64 v39, v36, v39, s[4:5]
	v_fma_f32 v36, -v40, v36, v7
	v_cmp_lt_f32_e64 s[4:5], 0, v36
	v_cndmask_b32_e64 v36, v39, v40, s[4:5]
	v_mul_f32_e32 v39, 0x37800000, v36
	v_cndmask_b32_e32 v36, v36, v39, vcc
	v_cmp_class_f32_e32 vcc, v7, v21
	v_cndmask_b32_e32 v36, v36, v7, vcc
	v_pk_add_f32 v[40:41], v[36:37], v[30:31] op_sel_hi:[1,0] neg_lo:[0,1] neg_hi:[0,1]
	v_cmp_gt_f32_e32 vcc, 0, v40
	v_cmp_gt_f32_e64 s[4:5], 0, v41
	v_pk_fma_f32 v[36:37], v[32:33], v[36:37], 1.0 op_sel_hi:[0,1,0] neg_lo:[1,0,0] neg_hi:[1,0,0]
	v_cndmask_b32_e64 v43, 0, v25, s[4:5]
	v_cndmask_b32_e32 v42, 0, v25, vcc
	v_pk_fma_f32 v[18:19], v[36:37], v[42:43], v[18:19]
	v_pk_fma_f32 v[36:37], v[20:21], v[40:41], 1.0 op_sel_hi:[0,1,0] neg_lo:[1,0,0] neg_hi:[1,0,0]
	v_cmp_lt_f32_e64 s[16:17], v40, v38
	v_cmp_lt_f32_e64 s[20:21], v41, v38
	v_cndmask_b32_e64 v37, v37, 1.0, s[4:5]
	v_cndmask_b32_e64 v36, v36, 1.0, vcc
	v_cndmask_b32_e64 v43, 0, 1.0, s[20:21]
	v_cndmask_b32_e64 v42, 0, 1.0, s[16:17]
	v_pk_mul_f32 v[36:37], v[42:43], v[36:37]
	v_pk_mul_f32 v[36:37], v[26:27], v[36:37] op_sel_hi:[0,1]
	v_cmp_lt_f32_e64 s[16:17], v41, v33
	v_cmp_lt_f32_e64 s[20:21], v40, v33
	v_cndmask_b32_e64 v37, v37, -|v37|, s[36:37]
	v_cndmask_b32_e64 v36, v36, -|v36|, s[36:37]
	s_and_b64 s[20:21], s[14:15], s[20:21]
	s_and_b64 s[16:17], s[14:15], s[16:17]
	v_pk_fma_f32 v[18:19], v[36:37], s[30:31], v[18:19] op_sel_hi:[1,0,1]
	v_pk_fma_f32 v[36:37], v[24:25], v[40:41], 1.0 op_sel_hi:[0,1,0] neg_lo:[1,0,0] neg_hi:[1,0,0]
	v_cndmask_b32_e64 v41, 0, 1.0, s[16:17]
	v_cndmask_b32_e64 v40, 0, 1.0, s[20:21]
	v_pk_mul_f32 v[40:41], v[0:1], v[40:41] op_sel_hi:[0,1]
	v_cndmask_b32_e64 v37, v37, 1.0, s[4:5]
	v_cndmask_b32_e64 v36, v36, 1.0, vcc
	v_pk_fma_f32 v[18:19], v[36:37], v[40:41], v[18:19]
	buffer_load_dword v36, off, s[0:3], 0 offset:3600 ; 4-byte Folded Reload
	buffer_load_dword v37, off, s[0:3], 0 offset:3604 ; 4-byte Folded Reload
	;; [unrolled: 1-line block ×6, first 2 shown]
	s_waitcnt vmcnt(4)
	v_pk_add_f32 v[36:37], v[36:37], v[4:5] op_sel_hi:[1,0] neg_lo:[0,1] neg_hi:[0,1]
	s_waitcnt vmcnt(2)
	v_pk_add_f32 v[40:41], v[40:41], v[4:5] op_sel:[0,1] neg_lo:[0,1] neg_hi:[0,1]
	v_pk_mul_f32 v[40:41], v[40:41], v[40:41]
	s_waitcnt vmcnt(0)
	v_pk_add_f32 v[42:43], v[42:43], v[6:7] op_sel_hi:[1,0] neg_lo:[0,1] neg_hi:[0,1]
	v_pk_fma_f32 v[36:37], v[36:37], v[36:37], v[40:41]
	v_pk_fma_f32 v[36:37], v[42:43], v[42:43], v[36:37]
	v_cmp_gt_f32_e32 vcc, s43, v37
	v_mul_f32_e32 v7, 0x4f800000, v37
	v_cndmask_b32_e32 v7, v37, v7, vcc
	v_sqrt_f32_e32 v37, v7
	v_add_u32_e32 v39, -1, v37
	v_fma_f32 v40, -v39, v37, v7
	v_cmp_ge_f32_e64 s[4:5], 0, v40
	v_add_u32_e32 v40, 1, v37
	v_cndmask_b32_e64 v39, v37, v39, s[4:5]
	v_fma_f32 v37, -v40, v37, v7
	v_cmp_lt_f32_e64 s[4:5], 0, v37
	v_cndmask_b32_e64 v37, v39, v40, s[4:5]
	v_mul_f32_e32 v39, 0x37800000, v37
	v_cndmask_b32_e32 v37, v37, v39, vcc
	v_cmp_class_f32_e32 vcc, v7, v21
	v_cndmask_b32_e32 v37, v37, v7, vcc
	v_cmp_gt_f32_e32 vcc, s43, v36
	v_mul_f32_e32 v7, 0x4f800000, v36
	v_cndmask_b32_e32 v7, v36, v7, vcc
	v_sqrt_f32_e32 v36, v7
	v_add_u32_e32 v39, -1, v36
	v_fma_f32 v40, -v39, v36, v7
	v_cmp_ge_f32_e64 s[4:5], 0, v40
	v_add_u32_e32 v40, 1, v36
	v_cndmask_b32_e64 v39, v36, v39, s[4:5]
	v_fma_f32 v36, -v40, v36, v7
	v_cmp_lt_f32_e64 s[4:5], 0, v36
	v_cndmask_b32_e64 v36, v39, v40, s[4:5]
	v_mul_f32_e32 v39, 0x37800000, v36
	v_cndmask_b32_e32 v36, v36, v39, vcc
	v_cmp_class_f32_e32 vcc, v7, v21
	v_cndmask_b32_e32 v36, v36, v7, vcc
	v_pk_add_f32 v[40:41], v[36:37], v[30:31] op_sel_hi:[1,0] neg_lo:[0,1] neg_hi:[0,1]
	v_cmp_gt_f32_e32 vcc, 0, v40
	v_cmp_gt_f32_e64 s[4:5], 0, v41
	v_pk_fma_f32 v[36:37], v[32:33], v[36:37], 1.0 op_sel_hi:[0,1,0] neg_lo:[1,0,0] neg_hi:[1,0,0]
	v_cndmask_b32_e64 v43, 0, v25, s[4:5]
	v_cndmask_b32_e32 v42, 0, v25, vcc
	v_pk_fma_f32 v[36:37], v[36:37], v[42:43], v[122:123]
	v_pk_fma_f32 v[42:43], v[20:21], v[40:41], 1.0 op_sel_hi:[0,1,0] neg_lo:[1,0,0] neg_hi:[1,0,0]
	v_cmp_lt_f32_e64 s[16:17], v40, v38
	v_cmp_lt_f32_e64 s[20:21], v41, v38
	v_cndmask_b32_e64 v43, v43, 1.0, s[4:5]
	v_cndmask_b32_e64 v42, v42, 1.0, vcc
	v_cndmask_b32_e64 v123, 0, 1.0, s[20:21]
	v_cndmask_b32_e64 v122, 0, 1.0, s[16:17]
	v_pk_mul_f32 v[42:43], v[122:123], v[42:43]
	v_pk_mul_f32 v[42:43], v[26:27], v[42:43] op_sel_hi:[0,1]
	v_cmp_lt_f32_e64 s[16:17], v41, v33
	v_cmp_lt_f32_e64 s[20:21], v40, v33
	v_cndmask_b32_e64 v43, v43, -|v43|, s[36:37]
	v_cndmask_b32_e64 v42, v42, -|v42|, s[36:37]
	s_and_b64 s[20:21], s[14:15], s[20:21]
	s_and_b64 s[16:17], s[14:15], s[16:17]
	v_pk_fma_f32 v[36:37], v[42:43], s[30:31], v[36:37] op_sel_hi:[1,0,1]
	v_pk_fma_f32 v[42:43], v[24:25], v[40:41], 1.0 op_sel_hi:[0,1,0] neg_lo:[1,0,0] neg_hi:[1,0,0]
	v_cndmask_b32_e64 v41, 0, 1.0, s[16:17]
	v_cndmask_b32_e64 v40, 0, 1.0, s[20:21]
	v_pk_mul_f32 v[40:41], v[0:1], v[40:41] op_sel_hi:[0,1]
	v_cndmask_b32_e64 v43, v43, 1.0, s[4:5]
	v_cndmask_b32_e64 v42, v42, 1.0, vcc
	v_pk_fma_f32 v[122:123], v[42:43], v[40:41], v[36:37]
	buffer_load_dword v36, off, s[0:3], 0 offset:3616 ; 4-byte Folded Reload
	buffer_load_dword v37, off, s[0:3], 0 offset:3620 ; 4-byte Folded Reload
	;; [unrolled: 1-line block ×6, first 2 shown]
	s_waitcnt vmcnt(4)
	v_pk_add_f32 v[36:37], v[36:37], v[4:5] op_sel_hi:[1,0] neg_lo:[0,1] neg_hi:[0,1]
	s_waitcnt vmcnt(2)
	v_pk_add_f32 v[40:41], v[40:41], v[4:5] op_sel:[0,1] neg_lo:[0,1] neg_hi:[0,1]
	v_pk_mul_f32 v[40:41], v[40:41], v[40:41]
	s_waitcnt vmcnt(0)
	v_pk_add_f32 v[42:43], v[42:43], v[6:7] op_sel_hi:[1,0] neg_lo:[0,1] neg_hi:[0,1]
	v_pk_fma_f32 v[36:37], v[36:37], v[36:37], v[40:41]
	v_pk_fma_f32 v[36:37], v[42:43], v[42:43], v[36:37]
	v_cmp_gt_f32_e32 vcc, s43, v37
	v_mul_f32_e32 v7, 0x4f800000, v37
	v_cndmask_b32_e32 v7, v37, v7, vcc
	v_sqrt_f32_e32 v37, v7
	v_add_u32_e32 v39, -1, v37
	v_fma_f32 v40, -v39, v37, v7
	v_cmp_ge_f32_e64 s[4:5], 0, v40
	v_add_u32_e32 v40, 1, v37
	v_cndmask_b32_e64 v39, v37, v39, s[4:5]
	v_fma_f32 v37, -v40, v37, v7
	v_cmp_lt_f32_e64 s[4:5], 0, v37
	v_cndmask_b32_e64 v37, v39, v40, s[4:5]
	v_mul_f32_e32 v39, 0x37800000, v37
	v_cndmask_b32_e32 v37, v37, v39, vcc
	v_cmp_class_f32_e32 vcc, v7, v21
	v_cndmask_b32_e32 v37, v37, v7, vcc
	v_cmp_gt_f32_e32 vcc, s43, v36
	v_mul_f32_e32 v7, 0x4f800000, v36
	v_cndmask_b32_e32 v7, v36, v7, vcc
	v_sqrt_f32_e32 v36, v7
	v_add_u32_e32 v39, -1, v36
	v_fma_f32 v40, -v39, v36, v7
	v_cmp_ge_f32_e64 s[4:5], 0, v40
	v_add_u32_e32 v40, 1, v36
	v_cndmask_b32_e64 v39, v36, v39, s[4:5]
	v_fma_f32 v36, -v40, v36, v7
	v_cmp_lt_f32_e64 s[4:5], 0, v36
	v_cndmask_b32_e64 v36, v39, v40, s[4:5]
	v_mul_f32_e32 v39, 0x37800000, v36
	v_cndmask_b32_e32 v36, v36, v39, vcc
	v_cmp_class_f32_e32 vcc, v7, v21
	v_cndmask_b32_e32 v36, v36, v7, vcc
	v_pk_add_f32 v[40:41], v[36:37], v[30:31] op_sel_hi:[1,0] neg_lo:[0,1] neg_hi:[0,1]
	v_cmp_gt_f32_e32 vcc, 0, v40
	v_cmp_gt_f32_e64 s[4:5], 0, v41
	v_pk_fma_f32 v[36:37], v[32:33], v[36:37], 1.0 op_sel_hi:[0,1,0] neg_lo:[1,0,0] neg_hi:[1,0,0]
	v_cndmask_b32_e64 v43, 0, v25, s[4:5]
	v_cndmask_b32_e32 v42, 0, v25, vcc
	v_pk_fma_f32 v[36:37], v[36:37], v[42:43], v[110:111]
	v_pk_fma_f32 v[42:43], v[20:21], v[40:41], 1.0 op_sel_hi:[0,1,0] neg_lo:[1,0,0] neg_hi:[1,0,0]
	v_cmp_lt_f32_e64 s[16:17], v40, v38
	v_cmp_lt_f32_e64 s[20:21], v41, v38
	v_cndmask_b32_e64 v43, v43, 1.0, s[4:5]
	v_cndmask_b32_e64 v42, v42, 1.0, vcc
	v_cndmask_b32_e64 v111, 0, 1.0, s[20:21]
	v_cndmask_b32_e64 v110, 0, 1.0, s[16:17]
	v_pk_mul_f32 v[42:43], v[110:111], v[42:43]
	v_pk_mul_f32 v[42:43], v[26:27], v[42:43] op_sel_hi:[0,1]
	v_cmp_lt_f32_e64 s[16:17], v41, v33
	v_cmp_lt_f32_e64 s[20:21], v40, v33
	v_cndmask_b32_e64 v43, v43, -|v43|, s[36:37]
	v_cndmask_b32_e64 v42, v42, -|v42|, s[36:37]
	s_and_b64 s[20:21], s[14:15], s[20:21]
	s_and_b64 s[16:17], s[14:15], s[16:17]
	v_pk_fma_f32 v[36:37], v[42:43], s[30:31], v[36:37] op_sel_hi:[1,0,1]
	v_pk_fma_f32 v[42:43], v[24:25], v[40:41], 1.0 op_sel_hi:[0,1,0] neg_lo:[1,0,0] neg_hi:[1,0,0]
	v_cndmask_b32_e64 v41, 0, 1.0, s[16:17]
	v_cndmask_b32_e64 v40, 0, 1.0, s[20:21]
	v_pk_mul_f32 v[40:41], v[0:1], v[40:41] op_sel_hi:[0,1]
	v_cndmask_b32_e64 v43, v43, 1.0, s[4:5]
	v_cndmask_b32_e64 v42, v42, 1.0, vcc
	v_pk_fma_f32 v[110:111], v[42:43], v[40:41], v[36:37]
	buffer_load_dword v36, off, s[0:3], 0 offset:3632 ; 4-byte Folded Reload
	buffer_load_dword v37, off, s[0:3], 0 offset:3636 ; 4-byte Folded Reload
	;; [unrolled: 1-line block ×4, first 2 shown]
	s_waitcnt vmcnt(2)
	v_pk_add_f32 v[36:37], v[36:37], v[4:5] op_sel_hi:[1,0] neg_lo:[0,1] neg_hi:[0,1]
	s_waitcnt vmcnt(0)
	v_pk_add_f32 v[4:5], v[40:41], v[4:5] op_sel:[0,1] neg_lo:[0,1] neg_hi:[0,1]
	buffer_load_dword v40, off, s[0:3], 0 offset:3792 ; 4-byte Folded Reload
	buffer_load_dword v41, off, s[0:3], 0 offset:3796 ; 4-byte Folded Reload
	v_pk_mul_f32 v[4:5], v[4:5], v[4:5]
	v_pk_fma_f32 v[4:5], v[36:37], v[36:37], v[4:5]
	s_waitcnt vmcnt(0)
	v_pk_add_f32 v[6:7], v[40:41], v[6:7] op_sel_hi:[1,0] neg_lo:[0,1] neg_hi:[0,1]
	v_pk_fma_f32 v[4:5], v[6:7], v[6:7], v[4:5]
	v_cmp_gt_f32_e32 vcc, s43, v5
	v_mul_f32_e32 v6, 0x4f800000, v5
	v_cndmask_b32_e32 v5, v5, v6, vcc
	v_sqrt_f32_e32 v6, v5
	v_add_u32_e32 v7, -1, v6
	v_fma_f32 v36, -v7, v6, v5
	v_cmp_ge_f32_e64 s[4:5], 0, v36
	v_add_u32_e32 v36, 1, v6
	v_cndmask_b32_e64 v7, v6, v7, s[4:5]
	v_fma_f32 v6, -v36, v6, v5
	v_cmp_lt_f32_e64 s[4:5], 0, v6
	v_cndmask_b32_e64 v6, v7, v36, s[4:5]
	v_mul_f32_e32 v7, 0x37800000, v6
	v_cndmask_b32_e32 v6, v6, v7, vcc
	v_cmp_class_f32_e32 vcc, v5, v21
	v_cndmask_b32_e32 v7, v6, v5, vcc
	v_cmp_gt_f32_e32 vcc, s43, v4
	v_mul_f32_e32 v5, 0x4f800000, v4
	v_cndmask_b32_e32 v4, v4, v5, vcc
	v_sqrt_f32_e32 v5, v4
	v_add_u32_e32 v6, -1, v5
	v_fma_f32 v36, -v6, v5, v4
	v_cmp_ge_f32_e64 s[4:5], 0, v36
	v_add_u32_e32 v36, 1, v5
	v_cndmask_b32_e64 v6, v5, v6, s[4:5]
	v_fma_f32 v5, -v36, v5, v4
	v_cmp_lt_f32_e64 s[4:5], 0, v5
	v_cndmask_b32_e64 v5, v6, v36, s[4:5]
	v_mul_f32_e32 v6, 0x37800000, v5
	v_cndmask_b32_e32 v5, v5, v6, vcc
	v_cmp_class_f32_e32 vcc, v4, v21
	v_cndmask_b32_e32 v6, v5, v4, vcc
	v_pk_add_f32 v[4:5], v[6:7], v[30:31] op_sel_hi:[1,0] neg_lo:[0,1] neg_hi:[0,1]
	v_cmp_gt_f32_e32 vcc, 0, v4
	v_cmp_gt_f32_e64 s[16:17], 0, v5
	v_pk_fma_f32 v[6:7], v[32:33], v[6:7], 1.0 op_sel_hi:[0,1,0] neg_lo:[1,0,0] neg_hi:[1,0,0]
	v_cndmask_b32_e64 v37, 0, v25, s[16:17]
	v_cndmask_b32_e32 v36, 0, v25, vcc
	v_pk_fma_f32 v[6:7], v[6:7], v[36:37], v[28:29]
	v_pk_fma_f32 v[28:29], v[20:21], v[4:5], 1.0 op_sel_hi:[0,1,0] neg_lo:[1,0,0] neg_hi:[1,0,0]
	v_cmp_lt_f32_e64 s[4:5], v4, v38
	v_cmp_lt_f32_e64 s[20:21], v5, v38
	v_cndmask_b32_e64 v29, v29, 1.0, s[16:17]
	v_cndmask_b32_e64 v28, v28, 1.0, vcc
	v_cndmask_b32_e64 v37, 0, 1.0, s[20:21]
	v_cndmask_b32_e64 v36, 0, 1.0, s[4:5]
	v_pk_mul_f32 v[28:29], v[36:37], v[28:29]
	v_pk_mul_f32 v[28:29], v[26:27], v[28:29] op_sel_hi:[0,1]
	v_cmp_lt_f32_e64 s[4:5], v5, v33
	v_cmp_lt_f32_e64 s[20:21], v4, v33
	v_cndmask_b32_e64 v29, v29, -|v29|, s[36:37]
	v_cndmask_b32_e64 v28, v28, -|v28|, s[36:37]
	s_and_b64 s[20:21], s[14:15], s[20:21]
	s_and_b64 s[4:5], s[14:15], s[4:5]
	v_pk_fma_f32 v[6:7], v[28:29], s[30:31], v[6:7] op_sel_hi:[1,0,1]
	v_pk_fma_f32 v[28:29], v[24:25], v[4:5], 1.0 op_sel_hi:[0,1,0] neg_lo:[1,0,0] neg_hi:[1,0,0]
	v_cndmask_b32_e64 v5, 0, 1.0, s[4:5]
	v_cndmask_b32_e64 v4, 0, 1.0, s[20:21]
	s_add_u32 s34, s34, 16
	v_pk_mul_f32 v[4:5], v[0:1], v[4:5] op_sel_hi:[0,1]
	v_cndmask_b32_e64 v29, v29, 1.0, s[16:17]
	v_cndmask_b32_e64 v28, v28, 1.0, vcc
	s_addc_u32 s35, s35, 0
	s_add_i32 s44, s44, -1
	v_mov_b32_e32 v20, 0
	v_pk_fma_f32 v[28:29], v[28:29], v[4:5], v[6:7]
	s_cmp_lg_u32 s44, 0
	s_cbranch_scc1 .LBB6_28
; %bb.29:                               ;   in Loop: Header=BB6_27 Depth=1
	s_add_i32 s28, s28, 1
	s_cmp_lg_u32 s28, s40
	buffer_store_dword v45, off, s[0:3], 0 offset:20
	buffer_store_dword v44, off, s[0:3], 0 offset:16
	;; [unrolled: 1-line block ×64, first 2 shown]
	s_cbranch_scc1 .LBB6_27
; %bb.30:
	s_and_saveexec_b64 s[4:5], s[18:19]
	s_cbranch_execz .LBB6_32
; %bb.31:
	s_mov_b32 s4, 0x51000
	buffer_load_dword v14, off, s[0:3], s4  ; 4-byte Folded Reload
	buffer_load_dword v15, off, s[0:3], s4 offset:4 ; 4-byte Folded Reload
	s_waitcnt vmcnt(0)
	v_mov_b32_e32 v15, 0
	v_mov_b32_e32 v3, s25
	v_mul_f32_e32 v2, 0.5, v44
	v_mov_b32_e32 v4, s25
	v_mov_b32_e32 v5, s25
	v_mov_b32_e32 v6, s25
	v_mov_b32_e32 v7, s25
	v_mov_b32_e32 v8, s25
	v_mov_b32_e32 v9, s25
	buffer_load_dword v12, off, s[0:3], 0 offset:248
	v_lshlrev_b64 v[0:1], 2, v[14:15]
	v_add_co_u32_e32 v0, vcc, s24, v0
	v_addc_co_u32_e32 v1, vcc, v3, v1, vcc
	v_add_u32_e32 v14, s31, v14
	global_store_dword v[0:1], v2, off
	v_lshlrev_b64 v[0:1], 2, v[14:15]
	v_add_co_u32_e32 v0, vcc, s24, v0
	v_mul_f32_e32 v2, 0.5, v45
	v_addc_co_u32_e32 v1, vcc, v3, v1, vcc
	v_add_u32_e32 v14, s31, v14
	global_store_dword v[0:1], v2, off
	v_lshlrev_b64 v[0:1], 2, v[14:15]
	v_add_co_u32_e32 v0, vcc, s24, v0
	v_mul_f32_e32 v2, 0.5, v34
	;; [unrolled: 6-line block ×7, first 2 shown]
	v_addc_co_u32_e32 v1, vcc, v3, v1, vcc
	buffer_load_dword v3, off, s[0:3], 0 offset:80
	v_add_u32_e32 v14, s31, v14
	global_store_dword v[0:1], v2, off
	v_lshlrev_b64 v[0:1], 2, v[14:15]
	v_add_co_u32_e32 v0, vcc, s24, v0
	v_mul_f32_e32 v2, 0.5, v106
	v_addc_co_u32_e32 v1, vcc, v4, v1, vcc
	buffer_load_dword v4, off, s[0:3], 0 offset:84
	v_add_u32_e32 v14, s31, v14
	global_store_dword v[0:1], v2, off
	v_lshlrev_b64 v[0:1], 2, v[14:15]
	v_add_co_u32_e32 v0, vcc, s24, v0
	v_addc_co_u32_e32 v1, vcc, v5, v1, vcc
	buffer_load_dword v5, off, s[0:3], 0 offset:88
	v_mul_f32_e32 v2, 0.5, v107
	v_add_u32_e32 v14, s31, v14
	global_store_dword v[0:1], v2, off
	v_lshlrev_b64 v[0:1], 2, v[14:15]
	v_add_co_u32_e32 v0, vcc, s24, v0
	v_addc_co_u32_e32 v1, vcc, v6, v1, vcc
	buffer_load_dword v6, off, s[0:3], 0 offset:92
	v_mul_f32_e32 v2, 0.5, v96
	;; [unrolled: 7-line block ×3, first 2 shown]
	v_add_u32_e32 v14, s31, v14
	global_store_dword v[0:1], v2, off
	v_lshlrev_b64 v[0:1], 2, v[14:15]
	v_add_co_u32_e32 v0, vcc, s24, v0
	v_mul_f32_e32 v2, 0.5, v84
	v_addc_co_u32_e32 v1, vcc, v8, v1, vcc
	buffer_load_dword v8, off, s[0:3], 0 offset:100
	v_add_u32_e32 v14, s31, v14
	global_store_dword v[0:1], v2, off
	v_lshlrev_b64 v[0:1], 2, v[14:15]
	v_add_co_u32_e32 v0, vcc, s24, v0
	v_mul_f32_e32 v2, 0.5, v85
	v_addc_co_u32_e32 v1, vcc, v9, v1, vcc
	buffer_load_dword v9, off, s[0:3], 0 offset:104
	v_add_u32_e32 v14, s31, v14
	global_store_dword v[0:1], v2, off
	v_lshlrev_b64 v[0:1], 2, v[14:15]
	v_mov_b32_e32 v10, s25
	v_add_co_u32_e32 v0, vcc, s24, v0
	v_mul_f32_e32 v2, 0.5, v72
	v_addc_co_u32_e32 v1, vcc, v10, v1, vcc
	buffer_load_dword v10, off, s[0:3], 0 offset:108
	v_add_u32_e32 v14, s31, v14
	global_store_dword v[0:1], v2, off
	v_lshlrev_b64 v[0:1], 2, v[14:15]
	v_mov_b32_e32 v11, s25
	v_add_co_u32_e32 v0, vcc, s24, v0
	v_mul_f32_e32 v2, 0.5, v73
	v_addc_co_u32_e32 v1, vcc, v11, v1, vcc
	v_add_u32_e32 v14, s31, v14
	global_store_dword v[0:1], v2, off
	v_lshlrev_b64 v[0:1], 2, v[14:15]
	v_add_co_u32_e32 v0, vcc, s24, v0
	buffer_load_dword v2, off, s[0:3], 0 offset:112
	s_waitcnt vmcnt(17)
	v_mul_f32_e32 v3, 0.5, v3
	v_addc_co_u32_e32 v1, vcc, v11, v1, vcc
	v_add_u32_e32 v14, s31, v14
	global_store_dword v[0:1], v3, off
	buffer_load_dword v3, off, s[0:3], 0 offset:116
	v_lshlrev_b64 v[0:1], 2, v[14:15]
	v_add_co_u32_e32 v0, vcc, s24, v0
	s_waitcnt vmcnt(17)
	v_mul_f32_e32 v4, 0.5, v4
	v_addc_co_u32_e32 v1, vcc, v11, v1, vcc
	v_add_u32_e32 v14, s31, v14
	global_store_dword v[0:1], v4, off
	buffer_load_dword v4, off, s[0:3], 0 offset:120
	v_lshlrev_b64 v[0:1], 2, v[14:15]
	v_add_co_u32_e32 v0, vcc, s24, v0
	s_waitcnt vmcnt(17)
	v_mul_f32_e32 v5, 0.5, v5
	v_addc_co_u32_e32 v1, vcc, v11, v1, vcc
	global_store_dword v[0:1], v5, off
	buffer_load_dword v5, off, s[0:3], 0 offset:124
	v_add_u32_e32 v14, s31, v14
	v_lshlrev_b64 v[0:1], 2, v[14:15]
	v_add_co_u32_e32 v0, vcc, s24, v0
	s_waitcnt vmcnt(17)
	v_mul_f32_e32 v6, 0.5, v6
	v_addc_co_u32_e32 v1, vcc, v11, v1, vcc
	global_store_dword v[0:1], v6, off
	buffer_load_dword v6, off, s[0:3], 0 offset:128
	v_add_u32_e32 v14, s31, v14
	;; [unrolled: 8-line block ×4, first 2 shown]
	v_lshlrev_b64 v[0:1], 2, v[14:15]
	v_add_co_u32_e32 v0, vcc, s24, v0
	s_waitcnt vmcnt(17)
	v_mul_f32_e32 v9, 0.5, v9
	v_addc_co_u32_e32 v1, vcc, v11, v1, vcc
	v_add_u32_e32 v14, s31, v14
	global_store_dword v[0:1], v9, off
	buffer_load_dword v9, off, s[0:3], 0 offset:140
	v_lshlrev_b64 v[0:1], 2, v[14:15]
	v_add_co_u32_e32 v0, vcc, s24, v0
	v_addc_co_u32_e32 v1, vcc, v11, v1, vcc
	s_waitcnt vmcnt(17)
	v_mul_f32_e32 v10, 0.5, v10
	v_add_u32_e32 v14, s31, v14
	global_store_dword v[0:1], v10, off
	buffer_load_dword v10, off, s[0:3], 0 offset:144
	v_lshlrev_b64 v[0:1], 2, v[14:15]
	v_add_co_u32_e32 v0, vcc, s24, v0
	v_addc_co_u32_e32 v1, vcc, v11, v1, vcc
	v_add_u32_e32 v14, s31, v14
	s_waitcnt vmcnt(16)
	v_mul_f32_e32 v2, 0.5, v2
	global_store_dword v[0:1], v2, off
	v_lshlrev_b64 v[0:1], 2, v[14:15]
	v_add_co_u32_e32 v0, vcc, s24, v0
	v_addc_co_u32_e32 v1, vcc, v11, v1, vcc
	s_waitcnt vmcnt(15)
	v_mul_f32_e32 v2, 0.5, v3
	buffer_load_dword v3, off, s[0:3], 0 offset:148
	v_add_u32_e32 v14, s31, v14
	global_store_dword v[0:1], v2, off
	v_lshlrev_b64 v[0:1], 2, v[14:15]
	v_add_co_u32_e32 v0, vcc, s24, v0
	v_addc_co_u32_e32 v1, vcc, v11, v1, vcc
	s_waitcnt vmcnt(15)
	v_mul_f32_e32 v2, 0.5, v4
	buffer_load_dword v4, off, s[0:3], 0 offset:152
	v_add_u32_e32 v14, s31, v14
	global_store_dword v[0:1], v2, off
	v_lshlrev_b64 v[0:1], 2, v[14:15]
	v_add_co_u32_e32 v0, vcc, s24, v0
	s_waitcnt vmcnt(15)
	v_mul_f32_e32 v2, 0.5, v5
	buffer_load_dword v5, off, s[0:3], 0 offset:156
	v_addc_co_u32_e32 v1, vcc, v11, v1, vcc
	global_store_dword v[0:1], v2, off
	v_add_u32_e32 v14, s31, v14
	v_lshlrev_b64 v[0:1], 2, v[14:15]
	v_add_co_u32_e32 v0, vcc, s24, v0
	s_waitcnt vmcnt(15)
	v_mul_f32_e32 v2, 0.5, v6
	buffer_load_dword v6, off, s[0:3], 0 offset:160
	v_addc_co_u32_e32 v1, vcc, v11, v1, vcc
	global_store_dword v[0:1], v2, off
	v_add_u32_e32 v14, s31, v14
	;; [unrolled: 8-line block ×3, first 2 shown]
	v_lshlrev_b64 v[0:1], 2, v[14:15]
	v_add_co_u32_e32 v0, vcc, s24, v0
	s_waitcnt vmcnt(15)
	v_mul_f32_e32 v2, 0.5, v8
	buffer_load_dword v8, off, s[0:3], 0 offset:168
	v_addc_co_u32_e32 v1, vcc, v11, v1, vcc
	v_add_u32_e32 v14, s31, v14
	global_store_dword v[0:1], v2, off
	v_lshlrev_b64 v[0:1], 2, v[14:15]
	v_add_co_u32_e32 v0, vcc, s24, v0
	v_addc_co_u32_e32 v1, vcc, v11, v1, vcc
	s_waitcnt vmcnt(15)
	v_mul_f32_e32 v2, 0.5, v9
	buffer_load_dword v9, off, s[0:3], 0 offset:172
	v_add_u32_e32 v14, s31, v14
	global_store_dword v[0:1], v2, off
	v_lshlrev_b64 v[0:1], 2, v[14:15]
	v_add_co_u32_e32 v0, vcc, s24, v0
	buffer_load_dword v2, off, s[0:3], 0 offset:176
	s_waitcnt vmcnt(16)
	v_mul_f32_e32 v10, 0.5, v10
	v_addc_co_u32_e32 v1, vcc, v11, v1, vcc
	v_add_u32_e32 v14, s31, v14
	global_store_dword v[0:1], v10, off
	buffer_load_dword v10, off, s[0:3], 0 offset:180
	v_lshlrev_b64 v[0:1], 2, v[14:15]
	v_add_co_u32_e32 v0, vcc, s24, v0
	v_addc_co_u32_e32 v1, vcc, v11, v1, vcc
	v_add_u32_e32 v14, s31, v14
	s_waitcnt vmcnt(16)
	v_mul_f32_e32 v3, 0.5, v3
	global_store_dword v[0:1], v3, off
	buffer_load_dword v3, off, s[0:3], 0 offset:184
	v_lshlrev_b64 v[0:1], 2, v[14:15]
	v_add_co_u32_e32 v0, vcc, s24, v0
	v_addc_co_u32_e32 v1, vcc, v11, v1, vcc
	v_add_u32_e32 v14, s31, v14
	s_waitcnt vmcnt(16)
	v_mul_f32_e32 v4, 0.5, v4
	global_store_dword v[0:1], v4, off
	buffer_load_dword v4, off, s[0:3], 0 offset:188
	v_lshlrev_b64 v[0:1], 2, v[14:15]
	v_add_co_u32_e32 v0, vcc, s24, v0
	v_addc_co_u32_e32 v1, vcc, v11, v1, vcc
	s_waitcnt vmcnt(16)
	v_mul_f32_e32 v5, 0.5, v5
	global_store_dword v[0:1], v5, off
	buffer_load_dword v5, off, s[0:3], 0 offset:192
	v_add_u32_e32 v14, s31, v14
	v_lshlrev_b64 v[0:1], 2, v[14:15]
	v_add_co_u32_e32 v0, vcc, s24, v0
	v_addc_co_u32_e32 v1, vcc, v11, v1, vcc
	s_waitcnt vmcnt(16)
	v_mul_f32_e32 v6, 0.5, v6
	global_store_dword v[0:1], v6, off
	buffer_load_dword v6, off, s[0:3], 0 offset:196
	v_add_u32_e32 v14, s31, v14
	;; [unrolled: 8-line block ×4, first 2 shown]
	v_lshlrev_b64 v[0:1], 2, v[14:15]
	v_add_co_u32_e32 v0, vcc, s24, v0
	v_addc_co_u32_e32 v1, vcc, v11, v1, vcc
	v_add_u32_e32 v14, s31, v14
	s_waitcnt vmcnt(16)
	v_mul_f32_e32 v9, 0.5, v9
	global_store_dword v[0:1], v9, off
	v_lshlrev_b64 v[0:1], 2, v[14:15]
	v_add_co_u32_e32 v0, vcc, s24, v0
	buffer_load_dword v9, off, s[0:3], 0 offset:208
	s_waitcnt vmcnt(16)
	v_mul_f32_e32 v2, 0.5, v2
	v_addc_co_u32_e32 v1, vcc, v11, v1, vcc
	v_add_u32_e32 v14, s31, v14
	global_store_dword v[0:1], v2, off
	v_lshlrev_b64 v[0:1], 2, v[14:15]
	s_waitcnt vmcnt(15)
	v_mul_f32_e32 v2, 0.5, v10
	buffer_load_dword v10, off, s[0:3], 0 offset:212
	v_add_co_u32_e32 v0, vcc, s24, v0
	v_addc_co_u32_e32 v1, vcc, v11, v1, vcc
	v_add_u32_e32 v14, s31, v14
	global_store_dword v[0:1], v2, off
	v_lshlrev_b64 v[0:1], 2, v[14:15]
	v_add_co_u32_e32 v0, vcc, s24, v0
	v_addc_co_u32_e32 v1, vcc, v11, v1, vcc
	v_add_u32_e32 v14, s31, v14
	s_waitcnt vmcnt(15)
	v_mul_f32_e32 v2, 0.5, v3
	buffer_load_dword v3, off, s[0:3], 0 offset:216
	s_nop 0
	global_store_dword v[0:1], v2, off
	v_lshlrev_b64 v[0:1], 2, v[14:15]
	v_add_co_u32_e32 v0, vcc, s24, v0
	v_addc_co_u32_e32 v1, vcc, v11, v1, vcc
	s_waitcnt vmcnt(15)
	v_mul_f32_e32 v2, 0.5, v4
	buffer_load_dword v4, off, s[0:3], 0 offset:220
	v_add_u32_e32 v14, s31, v14
	global_store_dword v[0:1], v2, off
	v_lshlrev_b64 v[0:1], 2, v[14:15]
	v_add_co_u32_e32 v0, vcc, s24, v0
	v_addc_co_u32_e32 v1, vcc, v11, v1, vcc
	s_waitcnt vmcnt(15)
	v_mul_f32_e32 v2, 0.5, v5
	buffer_load_dword v5, off, s[0:3], 0 offset:224
	v_add_u32_e32 v14, s31, v14
	;; [unrolled: 8-line block ×5, first 2 shown]
	global_store_dword v[0:1], v2, off
	buffer_load_dword v2, off, s[0:3], 0 offset:240
	v_lshlrev_b64 v[0:1], 2, v[14:15]
	v_add_co_u32_e32 v0, vcc, s24, v0
	v_addc_co_u32_e32 v1, vcc, v11, v1, vcc
	buffer_load_dword v11, off, s[0:3], 0 offset:244
	v_add_u32_e32 v14, s31, v14
	s_waitcnt vmcnt(17)
	v_mul_f32_e32 v9, 0.5, v9
	global_store_dword v[0:1], v9, off
	v_lshlrev_b64 v[0:1], 2, v[14:15]
	v_add_co_u32_e32 v0, vcc, s24, v0
	v_add_u32_e32 v14, s31, v14
	s_waitcnt vmcnt(16)
	v_mul_f32_e32 v9, 0.5, v10
	v_mov_b32_e32 v10, s25
	v_addc_co_u32_e32 v1, vcc, v10, v1, vcc
	global_store_dword v[0:1], v9, off
	v_lshlrev_b64 v[0:1], 2, v[14:15]
	buffer_load_dword v10, off, s[0:3], 0 offset:252
	v_mov_b32_e32 v9, s25
	v_add_co_u32_e32 v0, vcc, s24, v0
	v_addc_co_u32_e32 v1, vcc, v9, v1, vcc
	buffer_load_dword v9, off, s[0:3], 0 offset:256
	v_add_u32_e32 v14, s31, v14
	s_waitcnt vmcnt(17)
	v_mul_f32_e32 v3, 0.5, v3
	global_store_dword v[0:1], v3, off
	v_lshlrev_b64 v[0:1], 2, v[14:15]
	v_add_co_u32_e32 v0, vcc, s24, v0
	v_add_u32_e32 v14, s31, v14
	s_waitcnt vmcnt(16)
	v_mul_f32_e32 v3, 0.5, v4
	v_mov_b32_e32 v4, s25
	v_addc_co_u32_e32 v1, vcc, v4, v1, vcc
	global_store_dword v[0:1], v3, off
	v_lshlrev_b64 v[0:1], 2, v[14:15]
	v_add_co_u32_e32 v0, vcc, s24, v0
	v_addc_co_u32_e32 v1, vcc, v4, v1, vcc
	s_waitcnt vmcnt(15)
	v_mul_f32_e32 v3, 0.5, v5
	buffer_load_dword v5, off, s[0:3], 0 offset:260
	buffer_load_dword v4, off, s[0:3], 0 offset:264
	v_add_u32_e32 v14, s31, v14
	global_store_dword v[0:1], v3, off
	v_lshlrev_b64 v[0:1], 2, v[14:15]
	v_add_co_u32_e32 v0, vcc, s24, v0
	s_waitcnt vmcnt(16)
	v_mul_f32_e32 v3, 0.5, v6
	v_mov_b32_e32 v6, s25
	v_addc_co_u32_e32 v1, vcc, v6, v1, vcc
	buffer_load_dword v6, off, s[0:3], 0 offset:268
	v_add_u32_e32 v14, s31, v14
	global_store_dword v[0:1], v3, off
	v_lshlrev_b64 v[0:1], 2, v[14:15]
	v_add_co_u32_e32 v0, vcc, s24, v0
	s_waitcnt vmcnt(16)
	v_mul_f32_e32 v3, 0.5, v7
	v_mov_b32_e32 v7, s25
	v_addc_co_u32_e32 v1, vcc, v7, v1, vcc
	v_add_u32_e32 v14, s31, v14
	global_store_dword v[0:1], v3, off
	v_lshlrev_b64 v[0:1], 2, v[14:15]
	v_add_co_u32_e32 v0, vcc, s24, v0
	s_waitcnt vmcnt(15)
	v_mul_f32_e32 v3, 0.5, v8
	v_addc_co_u32_e32 v1, vcc, v7, v1, vcc
	v_add_u32_e32 v14, s31, v14
	global_store_dword v[0:1], v3, off
	v_lshlrev_b64 v[0:1], 2, v[14:15]
	v_mov_b32_e32 v3, s25
	v_add_co_u32_e32 v0, vcc, s24, v0
	s_waitcnt vmcnt(14)
	v_mul_f32_e32 v2, 0.5, v2
	v_addc_co_u32_e32 v1, vcc, v3, v1, vcc
	v_add_u32_e32 v14, s31, v14
	global_store_dword v[0:1], v2, off
	v_lshlrev_b64 v[0:1], 2, v[14:15]
	v_add_co_u32_e32 v0, vcc, s24, v0
	s_waitcnt vmcnt(14)
	v_mul_f32_e32 v2, 0.5, v11
	v_addc_co_u32_e32 v1, vcc, v3, v1, vcc
	v_add_u32_e32 v14, s31, v14
	global_store_dword v[0:1], v2, off
	v_lshlrev_b64 v[0:1], 2, v[14:15]
	v_add_co_u32_e32 v0, vcc, s24, v0
	v_mul_f32_e32 v2, 0.5, v12
	v_addc_co_u32_e32 v1, vcc, v3, v1, vcc
	v_add_u32_e32 v14, s31, v14
	global_store_dword v[0:1], v2, off
	v_lshlrev_b64 v[0:1], 2, v[14:15]
	v_add_co_u32_e32 v0, vcc, s24, v0
	s_waitcnt vmcnt(13)
	v_mul_f32_e32 v2, 0.5, v10
	v_addc_co_u32_e32 v1, vcc, v3, v1, vcc
	v_add_u32_e32 v14, s31, v14
	global_store_dword v[0:1], v2, off
	v_lshlrev_b64 v[0:1], 2, v[14:15]
	v_add_co_u32_e32 v0, vcc, s24, v0
	s_waitcnt vmcnt(13)
	v_mul_f32_e32 v2, 0.5, v9
	v_addc_co_u32_e32 v1, vcc, v3, v1, vcc
	v_add_u32_e32 v14, s31, v14
	global_store_dword v[0:1], v2, off
	v_lshlrev_b64 v[0:1], 2, v[14:15]
	v_add_co_u32_e32 v0, vcc, s24, v0
	v_addc_co_u32_e32 v1, vcc, v3, v1, vcc
	v_add_u32_e32 v14, s31, v14
	s_waitcnt vmcnt(11)
	v_mul_f32_e32 v2, 0.5, v5
	global_store_dword v[0:1], v2, off
	v_lshlrev_b64 v[0:1], 2, v[14:15]
	v_add_co_u32_e32 v0, vcc, s24, v0
	s_waitcnt vmcnt(11)
	v_mul_f32_e32 v2, 0.5, v4
	v_addc_co_u32_e32 v1, vcc, v3, v1, vcc
	v_add_u32_e32 v14, s31, v14
	global_store_dword v[0:1], v2, off
	v_lshlrev_b64 v[0:1], 2, v[14:15]
	v_add_co_u32_e32 v0, vcc, s24, v0
	s_waitcnt vmcnt(10)
	v_mul_f32_e32 v2, 0.5, v6
	v_addc_co_u32_e32 v1, vcc, v3, v1, vcc
	global_store_dword v[0:1], v2, off
.LBB6_32:
	s_endpgm
	.section	.rodata,"a",@progbits
	.p2align	6, 0x0
	.amdhsa_kernel _ZL11fasten_mainILm64EEviiPK4AtomS2_PKfS4_S4_S4_S4_S4_PfPK8FFParamsi
		.amdhsa_group_segment_fixed_size 0
		.amdhsa_private_segment_fixed_size 5200
		.amdhsa_kernarg_size 352
		.amdhsa_user_sgpr_count 8
		.amdhsa_user_sgpr_private_segment_buffer 1
		.amdhsa_user_sgpr_dispatch_ptr 0
		.amdhsa_user_sgpr_queue_ptr 0
		.amdhsa_user_sgpr_kernarg_segment_ptr 1
		.amdhsa_user_sgpr_dispatch_id 0
		.amdhsa_user_sgpr_flat_scratch_init 1
		.amdhsa_user_sgpr_kernarg_preload_length 0
		.amdhsa_user_sgpr_kernarg_preload_offset 0
		.amdhsa_user_sgpr_private_segment_size 0
		.amdhsa_uses_dynamic_stack 0
		.amdhsa_system_sgpr_private_segment_wavefront_offset 1
		.amdhsa_system_sgpr_workgroup_id_x 1
		.amdhsa_system_sgpr_workgroup_id_y 0
		.amdhsa_system_sgpr_workgroup_id_z 0
		.amdhsa_system_sgpr_workgroup_info 0
		.amdhsa_system_vgpr_workitem_id 0
		.amdhsa_next_free_vgpr 128
		.amdhsa_next_free_sgpr 52
		.amdhsa_accum_offset 128
		.amdhsa_reserve_vcc 1
		.amdhsa_reserve_flat_scratch 0
		.amdhsa_float_round_mode_32 0
		.amdhsa_float_round_mode_16_64 0
		.amdhsa_float_denorm_mode_32 3
		.amdhsa_float_denorm_mode_16_64 3
		.amdhsa_dx10_clamp 1
		.amdhsa_ieee_mode 1
		.amdhsa_fp16_overflow 0
		.amdhsa_tg_split 0
		.amdhsa_exception_fp_ieee_invalid_op 0
		.amdhsa_exception_fp_denorm_src 0
		.amdhsa_exception_fp_ieee_div_zero 0
		.amdhsa_exception_fp_ieee_overflow 0
		.amdhsa_exception_fp_ieee_underflow 0
		.amdhsa_exception_fp_ieee_inexact 0
		.amdhsa_exception_int_div_zero 0
	.end_amdhsa_kernel
	.section	.text._ZL11fasten_mainILm64EEviiPK4AtomS2_PKfS4_S4_S4_S4_S4_PfPK8FFParamsi,"axG",@progbits,_ZL11fasten_mainILm64EEviiPK4AtomS2_PKfS4_S4_S4_S4_S4_PfPK8FFParamsi,comdat
.Lfunc_end6:
	.size	_ZL11fasten_mainILm64EEviiPK4AtomS2_PKfS4_S4_S4_S4_S4_PfPK8FFParamsi, .Lfunc_end6-_ZL11fasten_mainILm64EEviiPK4AtomS2_PKfS4_S4_S4_S4_S4_PfPK8FFParamsi
                                        ; -- End function
	.section	.AMDGPU.csdata,"",@progbits
; Kernel info:
; codeLenInByte = 47584
; NumSgprs: 56
; NumVgprs: 128
; NumAgprs: 0
; TotalNumVgprs: 128
; ScratchSize: 5200
; MemoryBound: 0
; FloatMode: 240
; IeeeMode: 1
; LDSByteSize: 0 bytes/workgroup (compile time only)
; SGPRBlocks: 6
; VGPRBlocks: 15
; NumSGPRsForWavesPerEU: 56
; NumVGPRsForWavesPerEU: 128
; AccumOffset: 128
; Occupancy: 4
; WaveLimiterHint : 1
; COMPUTE_PGM_RSRC2:SCRATCH_EN: 1
; COMPUTE_PGM_RSRC2:USER_SGPR: 8
; COMPUTE_PGM_RSRC2:TRAP_HANDLER: 0
; COMPUTE_PGM_RSRC2:TGID_X_EN: 1
; COMPUTE_PGM_RSRC2:TGID_Y_EN: 0
; COMPUTE_PGM_RSRC2:TGID_Z_EN: 0
; COMPUTE_PGM_RSRC2:TIDIG_COMP_CNT: 0
; COMPUTE_PGM_RSRC3_GFX90A:ACCUM_OFFSET: 31
; COMPUTE_PGM_RSRC3_GFX90A:TG_SPLIT: 0
	.section	.text._ZL11fasten_mainILm128EEviiPK4AtomS2_PKfS4_S4_S4_S4_S4_PfPK8FFParamsi,"axG",@progbits,_ZL11fasten_mainILm128EEviiPK4AtomS2_PKfS4_S4_S4_S4_S4_PfPK8FFParamsi,comdat
	.globl	_ZL11fasten_mainILm128EEviiPK4AtomS2_PKfS4_S4_S4_S4_S4_PfPK8FFParamsi ; -- Begin function _ZL11fasten_mainILm128EEviiPK4AtomS2_PKfS4_S4_S4_S4_S4_PfPK8FFParamsi
	.p2align	8
	.type	_ZL11fasten_mainILm128EEviiPK4AtomS2_PKfS4_S4_S4_S4_S4_PfPK8FFParamsi,@function
_ZL11fasten_mainILm128EEviiPK4AtomS2_PKfS4_S4_S4_S4_S4_PfPK8FFParamsi: ; @_ZL11fasten_mainILm128EEviiPK4AtomS2_PKfS4_S4_S4_S4_S4_PfPK8FFParamsi
; %bb.0:
	s_load_dword s6, s[4:5], 0x6c
	s_load_dword s7, s[4:5], 0x58
	s_load_dwordx16 s[36:51], s[4:5], 0x8
	s_add_u32 s0, s0, s9
	s_addc_u32 s1, s1, 0
	s_waitcnt lgkmcnt(0)
	s_and_b32 s33, s6, 0xffff
	s_mul_i32 s8, s8, s33
	v_lshl_add_u32 v8, s8, 7, v0
	s_add_i32 s6, s7, 0xffffff80
	v_mov_b32_e32 v0, s6
	v_cmp_gt_i32_e64 s[6:7], s7, v8
	v_cndmask_b32_e64 v0, v0, v8, s[6:7]
	v_ashrrev_i32_e32 v1, 31, v0
	v_lshlrev_b64 v[0:1], 2, v[0:1]
	s_lshl_b32 s18, s33, 2
	s_mov_b32 s19, 0
	v_mov_b32_e32 v9, 0x210
	s_brev_b32 s20, 18
	s_mov_b32 s21, 0xfe5163ab
	s_mov_b32 s22, 0x3c439041
	;; [unrolled: 1-line block ×10, first 2 shown]
	v_mov_b32_e32 v10, 0xbe2aaa9d
	v_mov_b32_e32 v11, 0x3d2aabf7
	;; [unrolled: 1-line block ×4, first 2 shown]
	s_movk_i32 s31, 0x1f8
	v_mov_b32_e32 v13, 16
	v_not_b32_e32 v14, 63
	v_not_b32_e32 v15, 31
	v_mov_b32_e32 v16, 0x7fc00000
	s_branch .LBB7_2
.LBB7_1:                                ;   in Loop: Header=BB7_2 Depth=1
	s_or_b64 exec, exec, s[8:9]
	v_mul_f32_e32 v30, v29, v29
	v_mov_b32_e32 v31, 0x3c0881c4
	v_fmac_f32_e32 v31, 0xb94c1982, v30
	v_fma_f32 v31, v30, v31, v10
	v_mul_f32_e32 v31, v30, v31
	v_fmac_f32_e32 v29, v29, v31
	v_mov_b32_e32 v31, 0xbab64f3b
	v_fmac_f32_e32 v31, 0x37d75334, v30
	v_fma_f32 v31, v30, v31, v11
	v_fma_f32 v31, v30, v31, v12
	v_fma_f32 v30, v30, v31, 1.0
	v_and_b32_e32 v31, 1, v28
	v_lshlrev_b32_e32 v28, 30, v28
	v_cmp_eq_u32_e32 vcc, 0, v31
	v_and_b32_e32 v28, 0x80000000, v28
	v_xor_b32_e32 v26, v26, v4
	v_cndmask_b32_e32 v29, v30, v29, vcc
	v_xor_b32_e32 v26, v26, v28
	v_xor_b32_e32 v26, v26, v29
	v_cmp_class_f32_e64 vcc, v4, s31
	v_cndmask_b32_e32 v4, v16, v26, vcc
	v_mul_f32_e32 v26, v25, v25
	v_mov_b32_e32 v28, 0x3c0881c4
	v_fmac_f32_e32 v28, 0xb94c1982, v26
	v_fma_f32 v28, v26, v28, v10
	v_mul_f32_e32 v28, v26, v28
	v_fmac_f32_e32 v25, v25, v28
	v_mov_b32_e32 v28, 0xbab64f3b
	v_fmac_f32_e32 v28, 0x37d75334, v26
	v_fma_f32 v28, v26, v28, v11
	v_fma_f32 v28, v26, v28, v12
	v_fma_f32 v26, v26, v28, 1.0
	v_and_b32_e32 v28, 1, v6
	v_cmp_eq_u32_e64 s[8:9], 0, v28
	v_lshlrev_b32_e32 v6, 30, v6
	v_cndmask_b32_e64 v25, -v25, v26, s[8:9]
	v_and_b32_e32 v6, 0x80000000, v6
	v_xor_b32_e32 v6, v6, v25
	v_mul_f32_e32 v25, v24, v24
	v_mov_b32_e32 v26, 0x3c0881c4
	v_fmac_f32_e32 v26, 0xb94c1982, v25
	v_fma_f32 v26, v25, v26, v10
	v_mul_f32_e32 v26, v25, v26
	v_fmac_f32_e32 v24, v24, v26
	v_mov_b32_e32 v26, 0xbab64f3b
	v_fmac_f32_e32 v26, 0x37d75334, v25
	v_fma_f32 v26, v25, v26, v11
	v_fma_f32 v26, v25, v26, v12
	v_fma_f32 v25, v25, v26, 1.0
	v_and_b32_e32 v26, 1, v23
	v_lshlrev_b32_e32 v23, 30, v23
	v_cmp_class_f32_e64 s[8:9], v21, s31
	v_cmp_eq_u32_e64 s[10:11], 0, v26
	v_and_b32_e32 v23, 0x80000000, v23
	v_xor_b32_e32 v21, v22, v21
	v_cndmask_b32_e64 v24, v25, v24, s[10:11]
	v_xor_b32_e32 v21, v21, v23
	v_xor_b32_e32 v21, v21, v24
	v_cndmask_b32_e64 v6, v16, v6, s[8:9]
	v_cndmask_b32_e64 v26, v16, v21, s[8:9]
	v_mov_b32_e32 v23, s47
	v_add_co_u32_e64 v22, s[8:9], s46, v0
	v_addc_co_u32_e64 v23, s[8:9], v23, v1, s[8:9]
	v_mul_f32_e32 v21, v20, v20
	global_load_dword v28, v[22:23], off
	v_mov_b32_e32 v22, 0x3c0881c4
	v_fmac_f32_e32 v22, 0xb94c1982, v21
	v_fma_f32 v22, v21, v22, v10
	v_mul_f32_e32 v24, v21, v22
	v_mov_b32_e32 v23, s49
	v_add_co_u32_e64 v22, s[8:9], s48, v0
	v_addc_co_u32_e64 v23, s[8:9], v23, v1, s[8:9]
	global_load_dword v29, v[22:23], off
	v_mov_b32_e32 v23, s51
	v_add_co_u32_e64 v22, s[8:9], s50, v0
	v_addc_co_u32_e64 v23, s[8:9], v23, v1, s[8:9]
	global_load_dword v30, v[22:23], off
	v_mov_b32_e32 v22, 0xbab64f3b
	v_fmac_f32_e32 v22, 0x37d75334, v21
	v_fma_f32 v22, v21, v22, v11
	v_fma_f32 v22, v21, v22, v12
	v_fma_f32 v21, v21, v22, 1.0
	v_and_b32_e32 v22, 1, v19
	v_fmac_f32_e32 v20, v20, v24
	v_cmp_eq_u32_e64 s[8:9], 0, v22
	v_lshlrev_b32_e32 v19, 30, v19
	v_cndmask_b32_e64 v20, -v20, v21, s[8:9]
	v_and_b32_e32 v19, 0x80000000, v19
	v_xor_b32_e32 v19, v19, v20
	v_mul_f32_e32 v20, v18, v18
	v_mov_b32_e32 v21, 0x3c0881c4
	v_fmac_f32_e32 v21, 0xb94c1982, v20
	v_fma_f32 v21, v20, v21, v10
	v_mul_f32_e32 v21, v20, v21
	v_fmac_f32_e32 v18, v18, v21
	v_mov_b32_e32 v21, 0xbab64f3b
	v_fmac_f32_e32 v21, 0x37d75334, v20
	v_fma_f32 v21, v20, v21, v11
	v_fma_f32 v21, v20, v21, v12
	v_fma_f32 v20, v20, v21, 1.0
	v_and_b32_e32 v21, 1, v17
	v_lshlrev_b32_e32 v17, 30, v17
	v_cmp_class_f32_e64 s[8:9], v5, s31
	v_cmp_eq_u32_e64 s[10:11], 0, v21
	v_and_b32_e32 v17, 0x80000000, v17
	v_xor_b32_e32 v5, v7, v5
	v_cndmask_b32_e64 v18, v20, v18, s[10:11]
	v_xor_b32_e32 v5, v5, v17
	v_xor_b32_e32 v5, v5, v18
	v_cndmask_b32_e64 v18, v16, v5, s[8:9]
	v_mul_f32_e32 v5, v27, v27
	v_mov_b32_e32 v7, 0x3c0881c4
	v_fmac_f32_e32 v7, 0xb94c1982, v5
	v_fma_f32 v7, v5, v7, v10
	v_mul_f32_e32 v7, v5, v7
	v_fmac_f32_e32 v27, v27, v7
	v_mov_b32_e32 v7, 0xbab64f3b
	v_fmac_f32_e32 v7, 0x37d75334, v5
	v_fma_f32 v7, v5, v7, v11
	v_fma_f32 v7, v5, v7, v12
	v_fma_f32 v5, v5, v7, 1.0
	v_and_b32_e32 v7, 1, v2
	v_cndmask_b32_e64 v19, v16, v19, s[8:9]
	v_cmp_eq_u32_e64 s[8:9], 0, v7
	v_lshlrev_b32_e32 v2, 30, v2
	v_cndmask_b32_e64 v5, -v27, v5, s[8:9]
	v_and_b32_e32 v2, 0x80000000, v2
	v_xor_b32_e32 v2, v2, v5
	v_cndmask_b32_e32 v20, v16, v2, vcc
	v_mul_f32_e32 v2, v18, v26
	v_mul_f32_e32 v17, v19, v26
	;; [unrolled: 1-line block ×5, first 2 shown]
	v_pk_mul_f32 v[22:23], v[6:7], v[20:21]
	v_fmac_f32_e32 v5, v18, v4
	v_pk_add_f32 v[24:25], v[6:7], v[20:21] neg_lo:[0,1] neg_hi:[0,1]
	buffer_store_dword v22, v9, s[0:3], 0 offen
	buffer_store_dword v25, v9, s[0:3], 0 offen offset:4
	buffer_store_dword v5, v9, s[0:3], 0 offen offset:8
	s_waitcnt vmcnt(5)
	buffer_store_dword v28, v9, s[0:3], 0 offen offset:12
	v_mul_f32_e32 v7, v2, v4
	v_mul_f32_e32 v5, v19, v20
	;; [unrolled: 1-line block ×3, first 2 shown]
	v_pk_mul_f32 v[22:23], v[6:7], v[4:5]
	v_fma_f32 v2, v17, v4, -v2
	v_pk_add_f32 v[24:25], v[6:7], v[4:5]
	buffer_store_dword v22, v9, s[0:3], 0 offen offset:16
	buffer_store_dword v25, v9, s[0:3], 0 offen offset:20
	buffer_store_dword v2, v9, s[0:3], 0 offen offset:24
	s_waitcnt vmcnt(8)
	buffer_store_dword v29, v9, s[0:3], 0 offen offset:28
	v_xor_b32_e32 v2, 0x80000000, v26
	buffer_store_dword v2, v9, s[0:3], 0 offen offset:32
	v_add_u32_e32 v2, s19, v13
	s_add_i32 s19, s19, 4
	s_add_u32 s40, s40, s18
	s_addc_u32 s41, s41, 0
	s_add_u32 s42, s42, s18
	s_addc_u32 s43, s43, 0
	;; [unrolled: 2-line block ×5, first 2 shown]
	s_add_u32 s50, s50, s18
	v_pk_mul_f32 v[4:5], v[18:19], v[6:7] op_sel_hi:[1,0]
	s_addc_u32 s51, s51, 0
	buffer_store_dword v5, v9, s[0:3], 0 offen offset:40
	buffer_store_dword v4, v9, s[0:3], 0 offen offset:36
	s_waitcnt vmcnt(11)
	buffer_store_dword v30, v9, s[0:3], 0 offen offset:44
	s_cmpk_lg_i32 s19, 0x200
	v_add_u32_e32 v9, 48, v9
	buffer_store_dword v3, v2, s[0:3], 0 offen
	s_cbranch_scc0 .LBB7_26
.LBB7_2:                                ; =>This Inner Loop Header: Depth=1
	v_mov_b32_e32 v2, s41
	v_add_co_u32_e32 v4, vcc, s40, v0
	v_addc_co_u32_e32 v5, vcc, v2, v1, vcc
	global_load_dword v5, v[4:5], off
                                        ; implicit-def: $vgpr17
                                        ; implicit-def: $vgpr18
	s_waitcnt vmcnt(0)
	v_and_b32_e32 v7, 0x7fffffff, v5
	v_lshrrev_b32_e32 v2, 23, v7
	v_and_b32_e32 v4, 0x7fffff, v7
	v_cmp_nlt_f32_e64 s[14:15], |v5|, s20
	v_add_u32_e32 v6, 0xffffff88, v2
	v_or_b32_e32 v4, 0x800000, v4
	s_and_saveexec_b64 s[8:9], s[14:15]
	s_xor_b64 s[16:17], exec, s[8:9]
	s_cbranch_execz .LBB7_4
; %bb.3:                                ;   in Loop: Header=BB7_2 Depth=1
	v_cmp_lt_u32_e32 vcc, 63, v6
	v_cndmask_b32_e32 v2, 0, v14, vcc
	v_add_u32_e32 v2, v2, v6
	v_cmp_lt_u32_e64 s[8:9], 31, v2
	v_cndmask_b32_e64 v17, 0, v15, s[8:9]
	v_add_u32_e32 v2, v17, v2
	v_cmp_lt_u32_e64 s[10:11], 31, v2
	v_cndmask_b32_e64 v17, 0, v15, s[10:11]
	v_mad_u64_u32 v[18:19], s[12:13], v4, s21, 0
	v_add_u32_e32 v17, v17, v2
	v_mov_b32_e32 v2, v19
	v_mad_u64_u32 v[20:21], s[12:13], v4, s22, v[2:3]
	v_mov_b32_e32 v2, v21
	v_mad_u64_u32 v[22:23], s[12:13], v4, s23, v[2:3]
	;; [unrolled: 2-line block ×6, first 2 shown]
	v_cndmask_b32_e32 v19, v28, v24, vcc
	v_cndmask_b32_e32 v2, v30, v26, vcc
	;; [unrolled: 1-line block ×3, first 2 shown]
	v_cndmask_b32_e64 v21, v2, v19, s[8:9]
	v_cndmask_b32_e64 v2, v23, v2, s[8:9]
	v_cndmask_b32_e32 v23, v26, v22, vcc
	v_cndmask_b32_e64 v19, v19, v23, s[8:9]
	v_sub_u32_e32 v25, 32, v17
	v_cmp_eq_u32_e64 s[12:13], 0, v17
	v_cndmask_b32_e32 v17, v24, v20, vcc
	v_cndmask_b32_e64 v2, v2, v21, s[10:11]
	v_cndmask_b32_e64 v21, v21, v19, s[10:11]
	;; [unrolled: 1-line block ×3, first 2 shown]
	v_alignbit_b32 v26, v2, v21, v25
	v_cndmask_b32_e64 v19, v19, v20, s[10:11]
	v_cndmask_b32_e64 v2, v26, v2, s[12:13]
	v_alignbit_b32 v23, v21, v19, v25
	v_cndmask_b32_e64 v21, v23, v21, s[12:13]
	v_bfe_u32 v26, v2, 29, 1
	v_cndmask_b32_e32 v18, v22, v18, vcc
	v_alignbit_b32 v23, v2, v21, 30
	v_sub_u32_e32 v27, 0, v26
	v_cndmask_b32_e64 v17, v17, v18, s[8:9]
	v_xor_b32_e32 v28, v23, v27
	v_cndmask_b32_e64 v17, v20, v17, s[10:11]
	v_alignbit_b32 v18, v19, v17, v25
	v_ffbh_u32_e32 v20, v28
	v_cndmask_b32_e64 v18, v18, v19, s[12:13]
	v_add_u32_e32 v20, 1, v20
	v_cmp_ne_u32_e32 vcc, v23, v27
	v_alignbit_b32 v19, v21, v18, 30
	v_cndmask_b32_e32 v20, 33, v20, vcc
	v_alignbit_b32 v17, v18, v17, 30
	v_xor_b32_e32 v19, v19, v27
	v_sub_u32_e32 v21, 32, v20
	v_xor_b32_e32 v17, v17, v27
	v_alignbit_b32 v22, v28, v19, v21
	v_alignbit_b32 v17, v19, v17, v21
	;; [unrolled: 1-line block ×3, first 2 shown]
	v_ffbh_u32_e32 v19, v18
	v_min_u32_e32 v19, 32, v19
	v_lshrrev_b32_e32 v24, 29, v2
	v_sub_u32_e32 v21, 31, v19
	v_alignbit_b32 v17, v18, v17, v21
	v_lshlrev_b32_e32 v18, 31, v24
	v_or_b32_e32 v21, 0x33800000, v18
	v_add_lshl_u32 v19, v19, v20, 23
	v_lshrrev_b32_e32 v17, 9, v17
	v_sub_u32_e32 v19, v21, v19
	v_or_b32_e32 v17, v19, v17
	v_alignbit_b32 v19, v20, v22, 9
	v_or_b32_e32 v18, v19, v18
	v_xor_b32_e32 v18, 1.0, v18
	v_mul_f32_e32 v19, 0x3fc90fda, v18
	v_fma_f32 v20, v18, s28, -v19
	v_fmac_f32_e32 v20, 0x33a22168, v18
	v_fmac_f32_e32 v20, 0x3fc90fda, v17
	v_lshrrev_b32_e32 v2, 30, v2
	v_add_f32_e32 v18, v19, v20
	v_add_u32_e32 v17, v26, v2
.LBB7_4:                                ;   in Loop: Header=BB7_2 Depth=1
	s_or_saveexec_b64 s[8:9], s[16:17]
	v_mul_f32_e64 v2, |v5|, s29
	v_rndne_f32_e32 v2, v2
	s_xor_b64 exec, exec, s[8:9]
; %bb.5:                                ;   in Loop: Header=BB7_2 Depth=1
	v_cvt_i32_f32_e32 v17, v2
	v_fma_f32 v18, v2, s30, |v5|
	v_fmac_f32_e32 v18, 0xb3a22168, v2
	v_fmac_f32_e32 v18, 0xa7c234c4, v2
; %bb.6:                                ;   in Loop: Header=BB7_2 Depth=1
	s_or_b64 exec, exec, s[8:9]
                                        ; implicit-def: $vgpr19
                                        ; implicit-def: $vgpr20
	s_and_saveexec_b64 s[8:9], s[14:15]
	s_xor_b64 s[14:15], exec, s[8:9]
	s_cbranch_execz .LBB7_8
; %bb.7:                                ;   in Loop: Header=BB7_2 Depth=1
	v_cmp_lt_u32_e32 vcc, 63, v6
	v_cndmask_b32_e32 v2, 0, v14, vcc
	v_add_u32_e32 v2, v2, v6
	v_cmp_lt_u32_e64 s[8:9], 31, v2
	v_cndmask_b32_e64 v6, 0, v15, s[8:9]
	v_add_u32_e32 v2, v6, v2
	v_cmp_lt_u32_e64 s[10:11], 31, v2
	v_cndmask_b32_e64 v6, 0, v15, s[10:11]
	v_mad_u64_u32 v[20:21], s[12:13], v4, s21, 0
	v_add_u32_e32 v6, v6, v2
	v_mov_b32_e32 v2, v21
	v_mad_u64_u32 v[22:23], s[12:13], v4, s22, v[2:3]
	v_mov_b32_e32 v2, v23
	v_mad_u64_u32 v[24:25], s[12:13], v4, s23, v[2:3]
	;; [unrolled: 2-line block ×6, first 2 shown]
	v_cndmask_b32_e32 v19, v30, v26, vcc
	v_cndmask_b32_e32 v2, v32, v28, vcc
	;; [unrolled: 1-line block ×3, first 2 shown]
	v_cndmask_b32_e64 v4, v2, v19, s[8:9]
	v_cndmask_b32_e64 v2, v21, v2, s[8:9]
	v_cndmask_b32_e32 v21, v28, v24, vcc
	v_cndmask_b32_e64 v19, v19, v21, s[8:9]
	v_sub_u32_e32 v23, 32, v6
	v_cmp_eq_u32_e64 s[12:13], 0, v6
	v_cndmask_b32_e32 v6, v26, v22, vcc
	v_cndmask_b32_e64 v2, v2, v4, s[10:11]
	v_cndmask_b32_e64 v4, v4, v19, s[10:11]
	;; [unrolled: 1-line block ×3, first 2 shown]
	v_alignbit_b32 v25, v2, v4, v23
	v_cndmask_b32_e64 v19, v19, v21, s[10:11]
	v_cndmask_b32_e64 v2, v25, v2, s[12:13]
	v_alignbit_b32 v22, v4, v19, v23
	v_cndmask_b32_e32 v20, v24, v20, vcc
	v_cndmask_b32_e64 v4, v22, v4, s[12:13]
	v_bfe_u32 v26, v2, 29, 1
	v_cndmask_b32_e64 v6, v6, v20, s[8:9]
	v_alignbit_b32 v22, v2, v4, 30
	v_sub_u32_e32 v27, 0, v26
	v_cndmask_b32_e64 v6, v21, v6, s[10:11]
	v_xor_b32_e32 v28, v22, v27
	v_alignbit_b32 v20, v19, v6, v23
	v_cndmask_b32_e64 v19, v20, v19, s[12:13]
	v_ffbh_u32_e32 v20, v28
	v_add_u32_e32 v20, 1, v20
	v_cmp_ne_u32_e32 vcc, v22, v27
	v_alignbit_b32 v4, v4, v19, 30
	v_cndmask_b32_e32 v20, 33, v20, vcc
	v_alignbit_b32 v6, v19, v6, 30
	v_xor_b32_e32 v4, v4, v27
	v_sub_u32_e32 v21, 32, v20
	v_xor_b32_e32 v6, v6, v27
	v_alignbit_b32 v22, v28, v4, v21
	v_alignbit_b32 v4, v4, v6, v21
	;; [unrolled: 1-line block ×3, first 2 shown]
	v_ffbh_u32_e32 v19, v6
	v_min_u32_e32 v19, 32, v19
	v_lshrrev_b32_e32 v25, 29, v2
	v_sub_u32_e32 v21, 31, v19
	v_alignbit_b32 v4, v6, v4, v21
	v_lshlrev_b32_e32 v6, 31, v25
	v_or_b32_e32 v21, 0x33800000, v6
	v_add_lshl_u32 v19, v19, v20, 23
	v_lshrrev_b32_e32 v4, 9, v4
	v_sub_u32_e32 v19, v21, v19
	v_or_b32_e32 v4, v19, v4
	v_alignbit_b32 v19, v20, v22, 9
	v_or_b32_e32 v6, v19, v6
	v_xor_b32_e32 v6, 1.0, v6
	v_mul_f32_e32 v19, 0x3fc90fda, v6
	v_fma_f32 v20, v6, s28, -v19
	v_fmac_f32_e32 v20, 0x33a22168, v6
	v_fmac_f32_e32 v20, 0x3fc90fda, v4
	v_lshrrev_b32_e32 v2, 30, v2
	v_add_f32_e32 v20, v19, v20
	v_add_u32_e32 v19, v26, v2
                                        ; implicit-def: $vgpr2
	s_andn2_saveexec_b64 s[8:9], s[14:15]
	s_cbranch_execnz .LBB7_9
	s_branch .LBB7_10
.LBB7_8:                                ;   in Loop: Header=BB7_2 Depth=1
	s_andn2_saveexec_b64 s[8:9], s[14:15]
.LBB7_9:                                ;   in Loop: Header=BB7_2 Depth=1
	v_cvt_i32_f32_e32 v19, v2
	v_fma_f32 v20, v2, s30, |v5|
	v_fmac_f32_e32 v20, 0xb3a22168, v2
	v_fmac_f32_e32 v20, 0xa7c234c4, v2
.LBB7_10:                               ;   in Loop: Header=BB7_2 Depth=1
	s_or_b64 exec, exec, s[8:9]
	v_mov_b32_e32 v2, s43
	v_add_co_u32_e32 v22, vcc, s42, v0
	v_addc_co_u32_e32 v23, vcc, v2, v1, vcc
	global_load_dword v21, v[22:23], off
                                        ; implicit-def: $vgpr23
                                        ; implicit-def: $vgpr24
	s_waitcnt vmcnt(0)
	v_and_b32_e32 v22, 0x7fffffff, v21
	v_lshrrev_b32_e32 v2, 23, v22
	v_and_b32_e32 v4, 0x7fffff, v22
	v_cmp_nlt_f32_e64 s[14:15], |v21|, s20
	v_add_u32_e32 v26, 0xffffff88, v2
	v_or_b32_e32 v4, 0x800000, v4
	s_and_saveexec_b64 s[8:9], s[14:15]
	s_xor_b64 s[16:17], exec, s[8:9]
	s_cbranch_execz .LBB7_12
; %bb.11:                               ;   in Loop: Header=BB7_2 Depth=1
	v_cmp_lt_u32_e32 vcc, 63, v26
	v_cndmask_b32_e32 v2, 0, v14, vcc
	v_add_u32_e32 v2, v2, v26
	v_cmp_lt_u32_e64 s[8:9], 31, v2
	v_cndmask_b32_e64 v6, 0, v15, s[8:9]
	v_add_u32_e32 v2, v6, v2
	v_cmp_lt_u32_e64 s[10:11], 31, v2
	v_cndmask_b32_e64 v6, 0, v15, s[10:11]
	v_mad_u64_u32 v[24:25], s[12:13], v4, s21, 0
	v_add_u32_e32 v6, v6, v2
	v_mov_b32_e32 v2, v25
	v_mad_u64_u32 v[28:29], s[12:13], v4, s22, v[2:3]
	v_mov_b32_e32 v2, v29
	v_mad_u64_u32 v[30:31], s[12:13], v4, s23, v[2:3]
	v_mov_b32_e32 v2, v31
	v_mad_u64_u32 v[32:33], s[12:13], v4, s24, v[2:3]
	v_mov_b32_e32 v2, v33
	v_mad_u64_u32 v[34:35], s[12:13], v4, s25, v[2:3]
	v_mov_b32_e32 v2, v35
	v_mad_u64_u32 v[36:37], s[12:13], v4, s26, v[2:3]
	v_mov_b32_e32 v2, v37
	v_mad_u64_u32 v[38:39], s[12:13], v4, s27, v[2:3]
	v_cndmask_b32_e32 v23, v36, v32, vcc
	v_cndmask_b32_e32 v2, v38, v34, vcc
	;; [unrolled: 1-line block ×3, first 2 shown]
	v_cndmask_b32_e64 v25, v2, v23, s[8:9]
	v_cndmask_b32_e64 v2, v27, v2, s[8:9]
	v_cndmask_b32_e32 v27, v34, v30, vcc
	v_cndmask_b32_e64 v23, v23, v27, s[8:9]
	v_sub_u32_e32 v29, 32, v6
	v_cmp_eq_u32_e64 s[12:13], 0, v6
	v_cndmask_b32_e32 v6, v32, v28, vcc
	v_cndmask_b32_e64 v2, v2, v25, s[10:11]
	v_cndmask_b32_e64 v25, v25, v23, s[10:11]
	;; [unrolled: 1-line block ×3, first 2 shown]
	v_alignbit_b32 v31, v2, v25, v29
	v_cndmask_b32_e64 v23, v23, v27, s[10:11]
	v_cndmask_b32_e32 v24, v30, v24, vcc
	v_cndmask_b32_e64 v2, v31, v2, s[12:13]
	v_alignbit_b32 v28, v25, v23, v29
	v_cndmask_b32_e64 v6, v6, v24, s[8:9]
	v_cndmask_b32_e64 v25, v28, v25, s[12:13]
	v_bfe_u32 v32, v2, 29, 1
	v_cndmask_b32_e64 v6, v27, v6, s[10:11]
	v_alignbit_b32 v28, v2, v25, 30
	v_sub_u32_e32 v33, 0, v32
	v_alignbit_b32 v24, v23, v6, v29
	v_xor_b32_e32 v34, v28, v33
	v_cndmask_b32_e64 v23, v24, v23, s[12:13]
	v_alignbit_b32 v24, v25, v23, 30
	v_ffbh_u32_e32 v25, v34
	v_add_u32_e32 v25, 1, v25
	v_cmp_ne_u32_e32 vcc, v28, v33
	v_cndmask_b32_e32 v25, 33, v25, vcc
	v_alignbit_b32 v6, v23, v6, 30
	v_xor_b32_e32 v24, v24, v33
	v_sub_u32_e32 v27, 32, v25
	v_xor_b32_e32 v6, v6, v33
	v_alignbit_b32 v28, v34, v24, v27
	v_alignbit_b32 v6, v24, v6, v27
	;; [unrolled: 1-line block ×3, first 2 shown]
	v_ffbh_u32_e32 v24, v23
	v_min_u32_e32 v24, 32, v24
	v_lshrrev_b32_e32 v31, 29, v2
	v_sub_u32_e32 v27, 31, v24
	v_alignbit_b32 v6, v23, v6, v27
	v_lshlrev_b32_e32 v23, 31, v31
	v_or_b32_e32 v27, 0x33800000, v23
	v_add_lshl_u32 v24, v24, v25, 23
	v_lshrrev_b32_e32 v6, 9, v6
	v_sub_u32_e32 v24, v27, v24
	v_or_b32_e32 v6, v24, v6
	v_alignbit_b32 v24, v25, v28, 9
	v_or_b32_e32 v23, v24, v23
	v_xor_b32_e32 v23, 1.0, v23
	v_mul_f32_e32 v24, 0x3fc90fda, v23
	v_fma_f32 v25, v23, s28, -v24
	v_fmac_f32_e32 v25, 0x33a22168, v23
	v_fmac_f32_e32 v25, 0x3fc90fda, v6
	v_lshrrev_b32_e32 v2, 30, v2
	v_add_f32_e32 v24, v24, v25
	v_add_u32_e32 v23, v32, v2
.LBB7_12:                               ;   in Loop: Header=BB7_2 Depth=1
	s_or_saveexec_b64 s[8:9], s[16:17]
	v_mul_f32_e64 v2, |v21|, s29
	v_rndne_f32_e32 v2, v2
	s_xor_b64 exec, exec, s[8:9]
; %bb.13:                               ;   in Loop: Header=BB7_2 Depth=1
	v_cvt_i32_f32_e32 v23, v2
	v_fma_f32 v24, v2, s30, |v21|
	v_fmac_f32_e32 v24, 0xb3a22168, v2
	v_fmac_f32_e32 v24, 0xa7c234c4, v2
; %bb.14:                               ;   in Loop: Header=BB7_2 Depth=1
	s_or_b64 exec, exec, s[8:9]
                                        ; implicit-def: $vgpr6
                                        ; implicit-def: $vgpr25
	s_and_saveexec_b64 s[8:9], s[14:15]
	s_xor_b64 s[14:15], exec, s[8:9]
	s_cbranch_execz .LBB7_16
; %bb.15:                               ;   in Loop: Header=BB7_2 Depth=1
	v_cmp_lt_u32_e32 vcc, 63, v26
	v_cndmask_b32_e32 v2, 0, v14, vcc
	v_add_u32_e32 v2, v2, v26
	v_cmp_lt_u32_e64 s[8:9], 31, v2
	v_cndmask_b32_e64 v6, 0, v15, s[8:9]
	v_add_u32_e32 v2, v6, v2
	v_cmp_lt_u32_e64 s[10:11], 31, v2
	v_cndmask_b32_e64 v6, 0, v15, s[10:11]
	v_mad_u64_u32 v[26:27], s[12:13], v4, s21, 0
	v_add_u32_e32 v6, v6, v2
	v_mov_b32_e32 v2, v27
	v_mad_u64_u32 v[28:29], s[12:13], v4, s22, v[2:3]
	v_mov_b32_e32 v2, v29
	v_mad_u64_u32 v[30:31], s[12:13], v4, s23, v[2:3]
	;; [unrolled: 2-line block ×6, first 2 shown]
	v_cndmask_b32_e32 v25, v36, v32, vcc
	v_cndmask_b32_e32 v2, v38, v34, vcc
	v_cndmask_b32_e32 v27, v39, v36, vcc
	v_cndmask_b32_e64 v4, v2, v25, s[8:9]
	v_cndmask_b32_e64 v2, v27, v2, s[8:9]
	v_cndmask_b32_e32 v27, v34, v30, vcc
	v_cndmask_b32_e64 v25, v25, v27, s[8:9]
	v_sub_u32_e32 v29, 32, v6
	v_cmp_eq_u32_e64 s[12:13], 0, v6
	v_cndmask_b32_e32 v6, v32, v28, vcc
	v_cndmask_b32_e64 v2, v2, v4, s[10:11]
	v_cndmask_b32_e64 v4, v4, v25, s[10:11]
	;; [unrolled: 1-line block ×3, first 2 shown]
	v_alignbit_b32 v31, v2, v4, v29
	v_cndmask_b32_e64 v25, v25, v27, s[10:11]
	v_cndmask_b32_e64 v2, v31, v2, s[12:13]
	v_alignbit_b32 v28, v4, v25, v29
	v_cndmask_b32_e32 v26, v30, v26, vcc
	v_cndmask_b32_e64 v4, v28, v4, s[12:13]
	v_bfe_u32 v32, v2, 29, 1
	v_cndmask_b32_e64 v6, v6, v26, s[8:9]
	v_alignbit_b32 v28, v2, v4, 30
	v_sub_u32_e32 v33, 0, v32
	v_cndmask_b32_e64 v6, v27, v6, s[10:11]
	v_xor_b32_e32 v34, v28, v33
	v_alignbit_b32 v26, v25, v6, v29
	v_cndmask_b32_e64 v25, v26, v25, s[12:13]
	v_ffbh_u32_e32 v26, v34
	v_add_u32_e32 v26, 1, v26
	v_cmp_ne_u32_e32 vcc, v28, v33
	v_alignbit_b32 v4, v4, v25, 30
	v_cndmask_b32_e32 v26, 33, v26, vcc
	v_alignbit_b32 v6, v25, v6, 30
	v_xor_b32_e32 v4, v4, v33
	v_sub_u32_e32 v27, 32, v26
	v_xor_b32_e32 v6, v6, v33
	v_alignbit_b32 v28, v34, v4, v27
	v_alignbit_b32 v4, v4, v6, v27
	;; [unrolled: 1-line block ×3, first 2 shown]
	v_ffbh_u32_e32 v25, v6
	v_min_u32_e32 v25, 32, v25
	v_lshrrev_b32_e32 v31, 29, v2
	v_sub_u32_e32 v27, 31, v25
	v_alignbit_b32 v4, v6, v4, v27
	v_lshlrev_b32_e32 v6, 31, v31
	v_or_b32_e32 v27, 0x33800000, v6
	v_add_lshl_u32 v25, v25, v26, 23
	v_lshrrev_b32_e32 v4, 9, v4
	v_sub_u32_e32 v25, v27, v25
	v_or_b32_e32 v4, v25, v4
	v_alignbit_b32 v25, v26, v28, 9
	v_or_b32_e32 v6, v25, v6
	v_xor_b32_e32 v6, 1.0, v6
	v_mul_f32_e32 v25, 0x3fc90fda, v6
	v_fma_f32 v26, v6, s28, -v25
	v_fmac_f32_e32 v26, 0x33a22168, v6
	v_fmac_f32_e32 v26, 0x3fc90fda, v4
	v_lshrrev_b32_e32 v2, 30, v2
	v_add_f32_e32 v25, v25, v26
	v_add_u32_e32 v6, v32, v2
                                        ; implicit-def: $vgpr2
	s_andn2_saveexec_b64 s[8:9], s[14:15]
	s_cbranch_execnz .LBB7_17
	s_branch .LBB7_18
.LBB7_16:                               ;   in Loop: Header=BB7_2 Depth=1
	s_andn2_saveexec_b64 s[8:9], s[14:15]
.LBB7_17:                               ;   in Loop: Header=BB7_2 Depth=1
	v_cvt_i32_f32_e32 v6, v2
	v_fma_f32 v25, v2, s30, |v21|
	v_fmac_f32_e32 v25, 0xb3a22168, v2
	v_fmac_f32_e32 v25, 0xa7c234c4, v2
.LBB7_18:                               ;   in Loop: Header=BB7_2 Depth=1
	s_or_b64 exec, exec, s[8:9]
	v_mov_b32_e32 v2, s45
	v_add_co_u32_e32 v26, vcc, s44, v0
	v_addc_co_u32_e32 v27, vcc, v2, v1, vcc
	global_load_dword v4, v[26:27], off
                                        ; implicit-def: $vgpr28
                                        ; implicit-def: $vgpr29
	s_waitcnt vmcnt(0)
	v_and_b32_e32 v26, 0x7fffffff, v4
	v_lshrrev_b32_e32 v2, 23, v26
	v_and_b32_e32 v27, 0x7fffff, v26
	v_cmp_nlt_f32_e64 s[14:15], |v4|, s20
	v_add_u32_e32 v31, 0xffffff88, v2
	v_or_b32_e32 v30, 0x800000, v27
	s_and_saveexec_b64 s[8:9], s[14:15]
	s_xor_b64 s[16:17], exec, s[8:9]
	s_cbranch_execz .LBB7_20
; %bb.19:                               ;   in Loop: Header=BB7_2 Depth=1
	v_cmp_lt_u32_e32 vcc, 63, v31
	v_cndmask_b32_e32 v2, 0, v14, vcc
	v_add_u32_e32 v2, v2, v31
	v_cmp_lt_u32_e64 s[8:9], 31, v2
	v_cndmask_b32_e64 v27, 0, v15, s[8:9]
	v_add_u32_e32 v2, v27, v2
	v_cmp_lt_u32_e64 s[10:11], 31, v2
	v_cndmask_b32_e64 v27, 0, v15, s[10:11]
	v_mad_u64_u32 v[28:29], s[12:13], v30, s21, 0
	v_add_u32_e32 v27, v27, v2
	v_mov_b32_e32 v2, v29
	v_mad_u64_u32 v[32:33], s[12:13], v30, s22, v[2:3]
	v_mov_b32_e32 v2, v33
	v_mad_u64_u32 v[34:35], s[12:13], v30, s23, v[2:3]
	;; [unrolled: 2-line block ×6, first 2 shown]
	v_cndmask_b32_e32 v29, v40, v36, vcc
	v_cndmask_b32_e32 v2, v42, v38, vcc
	;; [unrolled: 1-line block ×3, first 2 shown]
	v_cndmask_b32_e64 v33, v2, v29, s[8:9]
	v_cndmask_b32_e64 v2, v35, v2, s[8:9]
	v_cndmask_b32_e32 v35, v38, v34, vcc
	v_cndmask_b32_e64 v29, v29, v35, s[8:9]
	v_sub_u32_e32 v37, 32, v27
	v_cmp_eq_u32_e64 s[12:13], 0, v27
	v_cndmask_b32_e32 v27, v36, v32, vcc
	v_cndmask_b32_e64 v2, v2, v33, s[10:11]
	v_cndmask_b32_e64 v33, v33, v29, s[10:11]
	;; [unrolled: 1-line block ×3, first 2 shown]
	v_alignbit_b32 v38, v2, v33, v37
	v_cndmask_b32_e64 v29, v29, v32, s[10:11]
	v_cndmask_b32_e64 v2, v38, v2, s[12:13]
	v_alignbit_b32 v35, v33, v29, v37
	v_cndmask_b32_e64 v33, v35, v33, s[12:13]
	v_bfe_u32 v38, v2, 29, 1
	v_cndmask_b32_e32 v28, v34, v28, vcc
	v_alignbit_b32 v35, v2, v33, 30
	v_sub_u32_e32 v39, 0, v38
	v_cndmask_b32_e64 v27, v27, v28, s[8:9]
	v_xor_b32_e32 v40, v35, v39
	v_cndmask_b32_e64 v27, v32, v27, s[10:11]
	v_alignbit_b32 v28, v29, v27, v37
	v_ffbh_u32_e32 v32, v40
	v_cndmask_b32_e64 v28, v28, v29, s[12:13]
	v_add_u32_e32 v32, 1, v32
	v_cmp_ne_u32_e32 vcc, v35, v39
	v_alignbit_b32 v29, v33, v28, 30
	v_cndmask_b32_e32 v32, 33, v32, vcc
	v_alignbit_b32 v27, v28, v27, 30
	v_xor_b32_e32 v29, v29, v39
	v_sub_u32_e32 v33, 32, v32
	v_xor_b32_e32 v27, v27, v39
	v_alignbit_b32 v34, v40, v29, v33
	v_alignbit_b32 v27, v29, v27, v33
	;; [unrolled: 1-line block ×3, first 2 shown]
	v_ffbh_u32_e32 v29, v28
	v_min_u32_e32 v29, 32, v29
	v_lshrrev_b32_e32 v36, 29, v2
	v_sub_u32_e32 v33, 31, v29
	v_alignbit_b32 v27, v28, v27, v33
	v_lshlrev_b32_e32 v28, 31, v36
	v_or_b32_e32 v33, 0x33800000, v28
	v_add_lshl_u32 v29, v29, v32, 23
	v_lshrrev_b32_e32 v27, 9, v27
	v_sub_u32_e32 v29, v33, v29
	v_or_b32_e32 v27, v29, v27
	v_alignbit_b32 v29, v32, v34, 9
	v_or_b32_e32 v28, v29, v28
	v_xor_b32_e32 v28, 1.0, v28
	v_mul_f32_e32 v29, 0x3fc90fda, v28
	v_fma_f32 v32, v28, s28, -v29
	v_fmac_f32_e32 v32, 0x33a22168, v28
	v_fmac_f32_e32 v32, 0x3fc90fda, v27
	v_lshrrev_b32_e32 v2, 30, v2
	v_add_f32_e32 v29, v29, v32
	v_add_u32_e32 v28, v38, v2
.LBB7_20:                               ;   in Loop: Header=BB7_2 Depth=1
	s_or_saveexec_b64 s[8:9], s[16:17]
	v_mul_f32_e64 v2, |v4|, s29
	v_rndne_f32_e32 v32, v2
	s_xor_b64 exec, exec, s[8:9]
; %bb.21:                               ;   in Loop: Header=BB7_2 Depth=1
	v_cvt_i32_f32_e32 v28, v32
	v_fma_f32 v29, v32, s30, |v4|
	v_fmac_f32_e32 v29, 0xb3a22168, v32
	v_fmac_f32_e32 v29, 0xa7c234c4, v32
; %bb.22:                               ;   in Loop: Header=BB7_2 Depth=1
	s_or_b64 exec, exec, s[8:9]
                                        ; implicit-def: $vgpr2
                                        ; implicit-def: $vgpr27
	s_and_saveexec_b64 s[8:9], s[14:15]
	s_xor_b64 s[14:15], exec, s[8:9]
	s_cbranch_execz .LBB7_24
; %bb.23:                               ;   in Loop: Header=BB7_2 Depth=1
	v_cmp_lt_u32_e32 vcc, 63, v31
	v_cndmask_b32_e32 v2, 0, v14, vcc
	v_add_u32_e32 v2, v2, v31
	v_cmp_lt_u32_e64 s[8:9], 31, v2
	v_cndmask_b32_e64 v27, 0, v15, s[8:9]
	v_add_u32_e32 v2, v27, v2
	v_cmp_lt_u32_e64 s[10:11], 31, v2
	v_cndmask_b32_e64 v27, 0, v15, s[10:11]
	v_mad_u64_u32 v[32:33], s[12:13], v30, s21, 0
	v_add_u32_e32 v27, v27, v2
	v_mov_b32_e32 v2, v33
	v_mad_u64_u32 v[34:35], s[12:13], v30, s22, v[2:3]
	v_mov_b32_e32 v2, v35
	v_mad_u64_u32 v[36:37], s[12:13], v30, s23, v[2:3]
	;; [unrolled: 2-line block ×6, first 2 shown]
	v_cndmask_b32_e32 v33, v42, v38, vcc
	v_cndmask_b32_e32 v2, v30, v40, vcc
	;; [unrolled: 1-line block ×3, first 2 shown]
	v_cndmask_b32_e64 v30, v2, v33, s[8:9]
	v_cndmask_b32_e64 v2, v31, v2, s[8:9]
	v_cndmask_b32_e32 v31, v40, v36, vcc
	v_cndmask_b32_e64 v33, v33, v31, s[8:9]
	v_sub_u32_e32 v35, 32, v27
	v_cmp_eq_u32_e64 s[12:13], 0, v27
	v_cndmask_b32_e32 v27, v38, v34, vcc
	v_cndmask_b32_e64 v2, v2, v30, s[10:11]
	v_cndmask_b32_e64 v30, v30, v33, s[10:11]
	v_cndmask_b32_e64 v31, v31, v27, s[8:9]
	v_alignbit_b32 v37, v2, v30, v35
	v_cndmask_b32_e64 v33, v33, v31, s[10:11]
	v_cndmask_b32_e64 v2, v37, v2, s[12:13]
	v_alignbit_b32 v34, v30, v33, v35
	v_cndmask_b32_e64 v30, v34, v30, s[12:13]
	v_bfe_u32 v38, v2, 29, 1
	v_cndmask_b32_e32 v32, v36, v32, vcc
	v_alignbit_b32 v34, v2, v30, 30
	v_sub_u32_e32 v39, 0, v38
	v_cndmask_b32_e64 v27, v27, v32, s[8:9]
	v_xor_b32_e32 v40, v34, v39
	v_cndmask_b32_e64 v27, v31, v27, s[10:11]
	v_alignbit_b32 v31, v33, v27, v35
	v_ffbh_u32_e32 v32, v40
	v_cndmask_b32_e64 v31, v31, v33, s[12:13]
	v_add_u32_e32 v32, 1, v32
	v_cmp_ne_u32_e32 vcc, v34, v39
	v_alignbit_b32 v30, v30, v31, 30
	v_cndmask_b32_e32 v32, 33, v32, vcc
	v_alignbit_b32 v27, v31, v27, 30
	v_xor_b32_e32 v30, v30, v39
	v_sub_u32_e32 v33, 32, v32
	v_xor_b32_e32 v27, v27, v39
	v_alignbit_b32 v34, v40, v30, v33
	v_alignbit_b32 v27, v30, v27, v33
	;; [unrolled: 1-line block ×3, first 2 shown]
	v_ffbh_u32_e32 v31, v30
	v_min_u32_e32 v31, 32, v31
	v_lshrrev_b32_e32 v37, 29, v2
	v_sub_u32_e32 v33, 31, v31
	v_alignbit_b32 v27, v30, v27, v33
	v_lshlrev_b32_e32 v30, 31, v37
	v_or_b32_e32 v33, 0x33800000, v30
	v_add_lshl_u32 v31, v31, v32, 23
	v_lshrrev_b32_e32 v27, 9, v27
	v_sub_u32_e32 v31, v33, v31
	v_or_b32_e32 v27, v31, v27
	v_alignbit_b32 v31, v32, v34, 9
	v_or_b32_e32 v30, v31, v30
	v_xor_b32_e32 v30, 1.0, v30
	v_mul_f32_e32 v31, 0x3fc90fda, v30
	v_fma_f32 v32, v30, s28, -v31
	v_fmac_f32_e32 v32, 0x33a22168, v30
	v_fmac_f32_e32 v32, 0x3fc90fda, v27
	v_lshrrev_b32_e32 v2, 30, v2
	v_add_f32_e32 v27, v31, v32
	v_add_u32_e32 v2, v38, v2
                                        ; implicit-def: $vgpr32
	s_andn2_saveexec_b64 s[8:9], s[14:15]
	s_cbranch_execz .LBB7_1
	s_branch .LBB7_25
.LBB7_24:                               ;   in Loop: Header=BB7_2 Depth=1
	s_andn2_saveexec_b64 s[8:9], s[14:15]
	s_cbranch_execz .LBB7_1
.LBB7_25:                               ;   in Loop: Header=BB7_2 Depth=1
	v_cvt_i32_f32_e32 v2, v32
	v_fma_f32 v27, v32, s30, |v4|
	v_fmac_f32_e32 v27, 0xb3a22168, v32
	v_fmac_f32_e32 v27, 0xa7c234c4, v32
	s_branch .LBB7_1
.LBB7_26:
	s_load_dwordx2 s[8:9], s[4:5], 0x0
	s_load_dwordx4 s[40:43], s[4:5], 0x48
	s_mov_b32 s35, 0
	v_mov_b32_e32 v9, 0
	v_mov_b32_e32 v37, 0x1a10
	s_waitcnt lgkmcnt(0)
	s_max_i32 s45, s9, 1
	s_max_i32 s48, s8, 1
	v_mov_b32_e32 v36, s43
	s_movk_i32 s49, 0x46
	s_movk_i32 s50, 0x45
	s_mov_b32 s51, 0xf800000
	v_mov_b32_e32 v38, 0x260
	v_mov_b32_e32 v39, 16
	s_mov_b32 s44, 0x42340000
	v_mov_b32_e32 v40, 0x40b00000
	v_mov_b32_e32 v41, 0xff7fffff
	;; [unrolled: 1-line block ×4, first 2 shown]
	s_mov_b32 s46, s35
.LBB7_27:                               ; =>This Loop Header: Depth=1
                                        ;     Child Loop BB7_28 Depth 2
                                        ;     Child Loop BB7_30 Depth 2
                                        ;       Child Loop BB7_31 Depth 3
	s_mov_b32 s47, s35
	s_lshl_b64 s[4:5], s[46:47], 4
	s_add_u32 s4, s38, s4
	s_addc_u32 s5, s39, s5
	global_load_dwordx4 v[4:7], v9, s[4:5]
	v_mov_b32_e32 v28, 0x210
	s_mov_b32 s4, s35
	s_waitcnt vmcnt(0)
	v_ashrrev_i32_e32 v1, 31, v7
	v_mov_b32_e32 v0, v7
	v_lshlrev_b64 v[0:1], 4, v[0:1]
	v_add_co_u32_e32 v0, vcc, s42, v0
	v_addc_co_u32_e32 v1, vcc, v36, v1, vcc
	global_load_dwordx4 v[0:3], v[0:1], off
	v_mov_b32_e32 v10, v4
	v_mov_b32_e32 v11, v4
	v_mov_b32_e32 v4, v5
	v_mov_b32_e32 v7, v6
.LBB7_28:                               ;   Parent Loop BB7_27 Depth=1
                                        ; =>  This Inner Loop Header: Depth=2
	buffer_load_dword v20, v28, s[0:3], 0 offen
	buffer_load_dword v16, v28, s[0:3], 0 offen offset:4
	buffer_load_dword v12, v28, s[0:3], 0 offen offset:8
	;; [unrolled: 1-line block ×47, first 2 shown]
	v_add_u32_e32 v29, s4, v37
	s_add_i32 s4, s4, 48
	v_add_u32_e32 v28, 0xc0, v28
	s_cmpk_lg_i32 s4, 0x600
	s_waitcnt vmcnt(32)
	v_pk_fma_f32 v[20:21], v[10:11], v[20:21], v[24:25]
	v_pk_fma_f32 v[16:17], v[4:5], v[16:17], v[20:21]
	s_waitcnt vmcnt(30)
	v_pk_fma_f32 v[22:23], v[10:11], v[22:23], v[26:27]
	v_pk_fma_f32 v[12:13], v[6:7], v[12:13], v[16:17]
	;; [unrolled: 3-line block ×3, first 2 shown]
	v_pk_fma_f32 v[16:17], v[6:7], v[34:35], v[20:21]
	s_waitcnt vmcnt(16)
	v_pk_fma_f32 v[26:27], v[10:11], v[46:47], v[48:49]
	s_waitcnt vmcnt(14)
	;; [unrolled: 2-line block ×4, first 2 shown]
	v_pk_fma_f32 v[18:19], v[4:5], v[18:19], v[22:23]
	v_pk_fma_f32 v[22:23], v[4:5], v[54:55], v[26:27]
	s_waitcnt vmcnt(7)
	v_pk_fma_f32 v[24:25], v[4:5], v[62:63], v[30:31]
	s_waitcnt vmcnt(5)
	;; [unrolled: 2-line block ×3, first 2 shown]
	v_pk_fma_f32 v[14:15], v[6:7], v[14:15], v[18:19]
	v_pk_fma_f32 v[18:19], v[6:7], v[56:57], v[22:23]
	s_waitcnt vmcnt(1)
	v_pk_fma_f32 v[22:23], v[6:7], v[68:69], v[26:27]
	s_waitcnt vmcnt(0)
	v_pk_fma_f32 v[20:21], v[6:7], v[66:67], v[24:25]
	buffer_store_dword v14, v29, s[0:3], 0 offen offset:4
	buffer_store_dword v12, v29, s[0:3], 0 offen
	buffer_store_dword v13, v29, s[0:3], 0 offen offset:12
	buffer_store_dword v16, v29, s[0:3], 0 offen offset:8
	;; [unrolled: 1-line block ×10, first 2 shown]
	s_cbranch_scc1 .LBB7_28
; %bb.29:                               ;   in Loop: Header=BB7_27 Depth=1
	v_cmp_gt_f32_e64 s[12:13], 0, v2
	v_cmp_lt_f32_e64 s[4:5], 0, v2
	v_cmp_eq_u32_e64 s[8:9], s49, v0
	v_cmp_eq_u32_e64 s[10:11], s50, v0
	v_cndmask_b32_e64 v0, 1.0, v40, s[12:13]
	v_cndmask_b32_e64 v44, v41, 1.0, s[12:13]
	s_mov_b32 s34, 0
.LBB7_30:                               ;   Parent Loop BB7_27 Depth=1
                                        ; =>  This Loop Header: Depth=2
                                        ;       Child Loop BB7_31 Depth 3
	s_lshl_b64 s[14:15], s[34:35], 4
	s_add_u32 s14, s36, s14
	s_addc_u32 s15, s37, s15
	global_load_dwordx4 v[4:7], v9, s[14:15]
	v_mov_b32_e32 v12, s43
	v_mov_b32_e32 v45, 0x1a10
	s_mov_b32 s47, 0
	s_waitcnt vmcnt(0)
	v_ashrrev_i32_e32 v11, 31, v7
	v_mov_b32_e32 v10, v7
	v_lshlrev_b64 v[10:11], 4, v[10:11]
	v_add_co_u32_e32 v10, vcc, s42, v10
	v_addc_co_u32_e32 v11, vcc, v12, v11, vcc
	global_load_dwordx4 v[14:17], v[10:11], off
	v_mov_b32_e32 v10, v4
	v_mov_b32_e32 v11, v4
	;; [unrolled: 1-line block ×4, first 2 shown]
	s_waitcnt vmcnt(0)
	v_cmp_lt_f32_e64 s[18:19], 0, v16
	v_cmp_gt_f32_e64 s[20:21], 0, v16
	v_cndmask_b32_e64 v46, v44, v0, s[20:21]
	s_and_b64 s[18:19], s[18:19], s[12:13]
	v_cmp_eq_u32_e32 vcc, s50, v14
	v_cmp_eq_u32_e64 s[22:23], s49, v14
	v_add_f32_e32 v14, v1, v15
	s_and_b64 s[20:21], s[20:21], s[4:5]
	v_cndmask_b32_e64 v18, v2, -v2, s[18:19]
	v_div_scale_f32 v20, s[18:19], v46, v46, 1.0
	v_mul_f32_e32 v12, v3, v17
	v_cndmask_b32_e64 v17, v16, -v16, s[20:21]
	v_div_scale_f32 v22, s[20:21], v14, v14, 1.0
	v_rcp_f32_e32 v24, v20
	v_rcp_f32_e32 v25, v22
	s_or_b64 s[16:17], vcc, s[10:11]
	v_div_scale_f32 v21, vcc, 1.0, v46, 1.0
	v_fma_f32 v26, -v20, v24, 1.0
	v_fma_f32 v27, -v22, v25, 1.0
	v_fmac_f32_e32 v24, v26, v24
	v_div_scale_f32 v23, s[20:21], 1.0, v14, 1.0
	v_fmac_f32_e32 v25, v27, v25
	v_mul_f32_e32 v26, v21, v24
	v_mul_f32_e32 v27, v23, v25
	v_fma_f32 v28, -v20, v26, v21
	v_fma_f32 v29, -v22, v27, v23
	v_fmac_f32_e32 v26, v28, v24
	v_fmac_f32_e32 v27, v29, v25
	v_fma_f32 v20, -v20, v26, v21
	v_fma_f32 v21, -v22, v27, v23
	v_div_fmas_f32 v20, v20, v24, v26
	s_mov_b64 vcc, s[20:21]
	s_and_b64 s[18:19], s[22:23], s[8:9]
	v_div_fmas_f32 v21, v21, v25, v27
	v_cmp_neq_f32_e64 s[14:15], 0, v16
	v_cndmask_b32_e64 v16, 0.5, v42, s[18:19]
	v_add_f32_e32 v18, v17, v18
	v_div_fixup_f32 v20, v20, v46, 1.0
	v_div_fixup_f32 v22, v21, v14, 1.0
	v_mov_b32_e32 v15, v14
	v_mov_b32_e32 v13, v12
	v_cndmask_b32_e64 v47, 2.0, 4.0, s[18:19]
	v_mov_b32_e32 v17, v16
	v_mov_b32_e32 v19, v18
	;; [unrolled: 1-line block ×4, first 2 shown]
.LBB7_31:                               ;   Parent Loop BB7_27 Depth=1
                                        ;     Parent Loop BB7_30 Depth=2
                                        ; =>    This Inner Loop Header: Depth=3
	buffer_load_dword v28, v45, s[0:3], 0 offen
	buffer_load_dword v26, v45, s[0:3], 0 offen offset:4
	buffer_load_dword v24, v45, s[0:3], 0 offen offset:8
	;; [unrolled: 1-line block ×11, first 2 shown]
	v_add_u32_e32 v48, s47, v39
	buffer_load_dword v50, v48, s[0:3], 0 offen
	buffer_load_dword v51, v48, s[0:3], 0 offen offset:4
	buffer_load_dword v52, v48, s[0:3], 0 offen offset:8
	;; [unrolled: 1-line block ×3, first 2 shown]
	s_add_i32 s47, s47, 16
	v_add_u32_e32 v45, 48, v45
	s_waitcnt vmcnt(12)
	v_pk_add_f32 v[28:29], v[28:29], v[10:11] neg_lo:[0,1] neg_hi:[0,1]
	s_waitcnt vmcnt(11)
	v_pk_add_f32 v[26:27], v[26:27], v[4:5] neg_lo:[0,1] neg_hi:[0,1]
	v_pk_mul_f32 v[26:27], v[26:27], v[26:27]
	s_waitcnt vmcnt(10)
	v_pk_add_f32 v[24:25], v[24:25], v[6:7] neg_lo:[0,1] neg_hi:[0,1]
	v_pk_fma_f32 v[26:27], v[28:29], v[28:29], v[26:27]
	v_pk_fma_f32 v[24:25], v[24:25], v[24:25], v[26:27]
	s_waitcnt vmcnt(6)
	v_pk_add_f32 v[34:35], v[34:35], v[10:11] neg_lo:[0,1] neg_hi:[0,1]
	s_waitcnt vmcnt(5)
	v_pk_add_f32 v[32:33], v[32:33], v[4:5] neg_lo:[0,1] neg_hi:[0,1]
	v_pk_mul_f32 v[32:33], v[32:33], v[32:33]
	s_waitcnt vmcnt(4)
	v_pk_add_f32 v[30:31], v[30:31], v[6:7] neg_lo:[0,1] neg_hi:[0,1]
	v_pk_fma_f32 v[28:29], v[34:35], v[34:35], v[32:33]
	v_pk_fma_f32 v[26:27], v[30:31], v[30:31], v[28:29]
	v_mul_f32_e32 v28, 0x4f800000, v25
	v_cmp_gt_f32_e64 s[22:23], s51, v25
	v_mul_f32_e32 v29, 0x4f800000, v24
	v_cmp_gt_f32_e32 vcc, s51, v24
	v_mul_f32_e32 v30, 0x4f800000, v27
	v_cmp_gt_f32_e64 s[18:19], s51, v27
	v_mul_f32_e32 v31, 0x4f800000, v26
	v_cmp_gt_f32_e64 s[20:21], s51, v26
	v_cndmask_b32_e64 v25, v25, v28, s[22:23]
	v_cndmask_b32_e32 v24, v24, v29, vcc
	v_cndmask_b32_e64 v27, v27, v30, s[18:19]
	v_cndmask_b32_e64 v26, v26, v31, s[20:21]
	v_sqrt_f32_e32 v28, v25
	v_sqrt_f32_e32 v29, v24
	;; [unrolled: 1-line block ×4, first 2 shown]
	v_add_u32_e32 v32, -1, v28
	v_add_u32_e32 v34, -1, v29
	;; [unrolled: 1-line block ×4, first 2 shown]
	v_fma_f32 v57, -v32, v28, v25
	v_add_u32_e32 v33, 1, v28
	v_add_u32_e32 v35, 1, v29
	;; [unrolled: 1-line block ×4, first 2 shown]
	v_fma_f32 v59, -v34, v29, v24
	v_fma_f32 v61, -v49, v30, v27
	;; [unrolled: 1-line block ×3, first 2 shown]
	v_cmp_ge_f32_e64 s[24:25], 0, v57
	v_fma_f32 v58, -v33, v28, v25
	v_fma_f32 v60, -v35, v29, v24
	;; [unrolled: 1-line block ×4, first 2 shown]
	v_cndmask_b32_e64 v28, v28, v32, s[24:25]
	v_cmp_ge_f32_e64 s[24:25], 0, v59
	v_cmp_ge_f32_e64 s[26:27], 0, v61
	;; [unrolled: 1-line block ×3, first 2 shown]
	v_cndmask_b32_e64 v29, v29, v34, s[24:25]
	v_cmp_lt_f32_e64 s[24:25], 0, v60
	v_cndmask_b32_e64 v30, v30, v49, s[26:27]
	v_cmp_lt_f32_e64 s[26:27], 0, v62
	v_cndmask_b32_e64 v31, v31, v55, s[28:29]
	v_cmp_lt_f32_e64 s[28:29], 0, v64
	v_cmp_lt_f32_e64 s[30:31], 0, v58
	v_cndmask_b32_e64 v28, v28, v33, s[30:31]
	v_cndmask_b32_e64 v29, v29, v35, s[24:25]
	;; [unrolled: 1-line block ×4, first 2 shown]
	v_mul_f32_e32 v32, 0x37800000, v28
	v_mul_f32_e32 v33, 0x37800000, v29
	;; [unrolled: 1-line block ×4, first 2 shown]
	v_cndmask_b32_e64 v28, v28, v32, s[22:23]
	v_cndmask_b32_e32 v29, v29, v33, vcc
	v_cmp_class_f32_e32 vcc, v24, v38
	v_cndmask_b32_e64 v30, v30, v34, s[18:19]
	v_cmp_class_f32_e64 s[18:19], v27, v38
	v_cndmask_b32_e64 v31, v31, v35, s[20:21]
	v_cmp_class_f32_e64 s[20:21], v26, v38
	v_cmp_class_f32_e64 s[22:23], v25, v38
	v_cndmask_b32_e64 v25, v28, v25, s[22:23]
	v_cndmask_b32_e32 v24, v29, v24, vcc
	v_cndmask_b32_e64 v27, v30, v27, s[18:19]
	v_cndmask_b32_e64 v26, v31, v26, s[20:21]
	v_pk_add_f32 v[28:29], v[24:25], v[14:15] neg_lo:[0,1] neg_hi:[0,1]
	v_pk_add_f32 v[30:31], v[26:27], v[14:15] neg_lo:[0,1] neg_hi:[0,1]
	v_cmp_lt_f32_e64 s[20:21], v29, v47
	v_cmp_lt_f32_e64 s[28:29], v31, v47
	v_cmp_gt_f32_e32 vcc, 0, v29
	v_cmp_gt_f32_e64 s[18:19], 0, v28
	v_pk_fma_f32 v[34:35], v[16:17], v[28:29], 1.0 op_sel_hi:[1,1,0] neg_lo:[1,0,0] neg_hi:[1,0,0]
	v_cndmask_b32_e64 v55, 0, 1.0, s[20:21]
	v_cmp_lt_f32_e64 s[20:21], v28, v47
	v_cmp_gt_f32_e64 s[24:25], 0, v31
	v_cmp_gt_f32_e64 s[26:27], 0, v30
	v_cndmask_b32_e64 v61, 0, 1.0, s[28:29]
	v_cmp_lt_f32_e64 s[28:29], v30, v47
	v_pk_fma_f32 v[26:27], v[22:23], v[26:27], 1.0 op_sel_hi:[1,1,0] neg_lo:[1,0,0] neg_hi:[1,0,0]
	v_cndmask_b32_e64 v54, 0, 1.0, s[20:21]
	v_pk_fma_f32 v[56:57], v[20:21], v[28:29], 1.0 op_sel_hi:[1,1,0] neg_lo:[1,0,0] neg_hi:[1,0,0]
	v_cmp_lt_f32_e64 s[20:21], v29, v46
	v_cmp_lt_f32_e64 s[22:23], v28, v46
	v_cndmask_b32_e64 v29, 0, v43, s[24:25]
	v_cndmask_b32_e64 v28, 0, v43, s[26:27]
	v_pk_fma_f32 v[58:59], v[16:17], v[30:31], 1.0 op_sel_hi:[1,1,0] neg_lo:[1,0,0] neg_hi:[1,0,0]
	v_cndmask_b32_e64 v60, 0, 1.0, s[28:29]
	v_pk_fma_f32 v[62:63], v[20:21], v[30:31], 1.0 op_sel_hi:[1,1,0] neg_lo:[1,0,0] neg_hi:[1,0,0]
	v_cmp_lt_f32_e64 s[28:29], v31, v46
	v_cmp_lt_f32_e64 s[30:31], v30, v46
	v_cndmask_b32_e64 v31, v35, 1.0, vcc
	v_cndmask_b32_e64 v30, v34, 1.0, s[18:19]
	s_waitcnt vmcnt(0)
	v_pk_fma_f32 v[26:27], v[26:27], v[28:29], v[52:53]
	v_cndmask_b32_e64 v29, v59, 1.0, s[24:25]
	v_cndmask_b32_e64 v28, v58, 1.0, s[26:27]
	v_pk_mul_f32 v[30:31], v[54:55], v[30:31]
	v_pk_mul_f32 v[28:29], v[60:61], v[28:29]
	;; [unrolled: 1-line block ×3, first 2 shown]
	v_pk_fma_f32 v[24:25], v[22:23], v[24:25], 1.0 op_sel_hi:[1,1,0] neg_lo:[1,0,0] neg_hi:[1,0,0]
	v_cndmask_b32_e32 v33, 0, v43, vcc
	v_cndmask_b32_e64 v32, 0, v43, s[18:19]
	s_and_b64 s[20:21], s[14:15], s[20:21]
	v_pk_mul_f32 v[28:29], v[12:13], v[28:29]
	v_and_b32_e32 v55, 0x7fffffff, v31
	v_and_b32_e32 v54, 0x7fffffff, v30
	v_pk_fma_f32 v[24:25], v[24:25], v[32:33], v[50:51]
	v_cndmask_b32_e64 v33, 0, 1.0, s[20:21]
	s_and_b64 s[20:21], s[14:15], s[22:23]
	v_cndmask_b32_e64 v35, v57, 1.0, vcc
	v_cndmask_b32_e64 v34, v56, 1.0, s[18:19]
	s_and_b64 s[18:19], s[14:15], s[28:29]
	v_and_b32_e32 v57, 0x7fffffff, v29
	v_and_b32_e32 v56, 0x7fffffff, v28
	v_pk_add_f32 v[54:55], v[54:55], 0 neg_lo:[1,1] neg_hi:[1,1]
	v_cndmask_b32_e64 v32, 0, 1.0, s[20:21]
	v_cndmask_b32_e64 v51, 0, 1.0, s[18:19]
	s_and_b64 s[18:19], s[14:15], s[30:31]
	v_pk_add_f32 v[56:57], v[56:57], 0 neg_lo:[1,1] neg_hi:[1,1]
	v_cndmask_b32_e64 v31, v31, v55, s[16:17]
	v_cndmask_b32_e64 v30, v30, v54, s[16:17]
	v_cndmask_b32_e64 v50, 0, 1.0, s[18:19]
	v_pk_mul_f32 v[32:33], v[18:19], v[32:33]
	v_cndmask_b32_e64 v29, v29, v57, s[16:17]
	v_cndmask_b32_e64 v28, v28, v56, s[16:17]
	v_pk_fma_f32 v[24:25], v[30:31], s[44:45], v[24:25] op_sel_hi:[1,0,1]
	v_cndmask_b32_e64 v53, v63, 1.0, s[24:25]
	v_cndmask_b32_e64 v52, v62, 1.0, s[26:27]
	v_pk_mul_f32 v[50:51], v[18:19], v[50:51]
	s_cmpk_lg_i32 s47, 0x200
	v_pk_fma_f32 v[26:27], v[28:29], s[44:45], v[26:27] op_sel_hi:[1,0,1]
	v_pk_fma_f32 v[24:25], v[34:35], v[32:33], v[24:25]
	v_pk_fma_f32 v[26:27], v[52:53], v[50:51], v[26:27]
	buffer_store_dword v24, v48, s[0:3], 0 offen
	buffer_store_dword v25, v48, s[0:3], 0 offen offset:4
	buffer_store_dword v26, v48, s[0:3], 0 offen offset:8
	;; [unrolled: 1-line block ×3, first 2 shown]
	s_cbranch_scc1 .LBB7_31
; %bb.32:                               ;   in Loop: Header=BB7_30 Depth=2
	s_add_i32 s34, s34, 1
	s_cmp_lg_u32 s34, s45
	s_cbranch_scc1 .LBB7_30
; %bb.33:                               ;   in Loop: Header=BB7_27 Depth=1
	s_add_i32 s46, s46, 1
	s_cmp_lg_u32 s46, s48
	s_cbranch_scc1 .LBB7_27
; %bb.34:
	s_and_saveexec_b64 s[4:5], s[6:7]
	s_cbranch_execz .LBB7_36
; %bb.35:
	buffer_load_dword v18, off, s[0:3], 0 offset:16
	buffer_load_dword v19, off, s[0:3], 0 offset:20
	;; [unrolled: 1-line block ×16, first 2 shown]
	v_mov_b32_e32 v9, 0
	v_lshlrev_b64 v[0:1], 2, v[8:9]
	v_mov_b32_e32 v2, s41
	v_add_u32_e32 v8, s33, v8
	v_add_co_u32_e32 v0, vcc, s40, v0
	v_addc_co_u32_e32 v1, vcc, v2, v1, vcc
	v_lshlrev_b64 v[2:3], 2, v[8:9]
	v_mov_b32_e32 v4, s41
	v_add_u32_e32 v8, s33, v8
	v_add_co_u32_e32 v2, vcc, s40, v2
	v_addc_co_u32_e32 v3, vcc, v4, v3, vcc
	;; [unrolled: 5-line block ×7, first 2 shown]
	v_lshlrev_b64 v[16:17], 2, v[8:9]
	v_add_u32_e32 v8, s33, v8
	s_waitcnt vmcnt(15)
	v_mul_f32_e32 v18, 0.5, v18
	s_waitcnt vmcnt(14)
	v_mul_f32_e32 v19, 0.5, v19
	;; [unrolled: 2-line block ×7, first 2 shown]
	global_store_dword v[0:1], v18, off
	global_store_dword v[2:3], v19, off
	global_store_dword v[4:5], v20, off
	global_store_dword v[6:7], v21, off
	global_store_dword v[10:11], v22, off
	global_store_dword v[12:13], v23, off
	global_store_dword v[14:15], v24, off
	v_mov_b32_e32 v1, s41
	v_add_co_u32_e32 v0, vcc, s40, v16
	s_waitcnt vmcnt(15)
	v_mul_f32_e32 v25, 0.5, v25
	v_addc_co_u32_e32 v1, vcc, v1, v17, vcc
	buffer_load_dword v3, off, s[0:3], 0 offset:80
	v_mov_b32_e32 v4, s41
	global_store_dword v[0:1], v25, off
	v_lshlrev_b64 v[0:1], 2, v[8:9]
	v_add_co_u32_e32 v0, vcc, s40, v0
	v_addc_co_u32_e32 v1, vcc, v4, v1, vcc
	buffer_load_dword v4, off, s[0:3], 0 offset:84
	s_waitcnt vmcnt(17)
	v_mul_f32_e32 v2, 0.5, v26
	v_add_u32_e32 v8, s33, v8
	global_store_dword v[0:1], v2, off
	v_lshlrev_b64 v[0:1], 2, v[8:9]
	v_mov_b32_e32 v5, s41
	v_add_co_u32_e32 v0, vcc, s40, v0
	s_waitcnt vmcnt(17)
	v_mul_f32_e32 v2, 0.5, v27
	v_addc_co_u32_e32 v1, vcc, v5, v1, vcc
	buffer_load_dword v5, off, s[0:3], 0 offset:88
	v_add_u32_e32 v8, s33, v8
	global_store_dword v[0:1], v2, off
	v_lshlrev_b64 v[0:1], 2, v[8:9]
	v_mov_b32_e32 v6, s41
	v_add_co_u32_e32 v0, vcc, s40, v0
	s_waitcnt vmcnt(18)
	v_mul_f32_e32 v2, 0.5, v28
	v_addc_co_u32_e32 v1, vcc, v6, v1, vcc
	buffer_load_dword v6, off, s[0:3], 0 offset:92
	;; [unrolled: 9-line block ×4, first 2 shown]
	v_add_u32_e32 v8, s33, v8
	global_store_dword v[0:1], v2, off
	v_lshlrev_b64 v[0:1], 2, v[8:9]
	v_mov_b32_e32 v11, s41
	v_add_co_u32_e32 v0, vcc, s40, v0
	v_addc_co_u32_e32 v1, vcc, v11, v1, vcc
	buffer_load_dword v11, off, s[0:3], 0 offset:104
	s_waitcnt vmcnt(22)
	v_mul_f32_e32 v2, 0.5, v31
	v_add_u32_e32 v8, s33, v8
	global_store_dword v[0:1], v2, off
	v_lshlrev_b64 v[0:1], 2, v[8:9]
	v_mov_b32_e32 v12, s41
	v_add_co_u32_e32 v0, vcc, s40, v0
	v_addc_co_u32_e32 v1, vcc, v12, v1, vcc
	buffer_load_dword v12, off, s[0:3], 0 offset:108
	s_waitcnt vmcnt(23)
	v_mul_f32_e32 v2, 0.5, v32
	v_add_u32_e32 v8, s33, v8
	global_store_dword v[0:1], v2, off
	v_lshlrev_b64 v[0:1], 2, v[8:9]
	v_mov_b32_e32 v13, s41
	v_add_co_u32_e32 v0, vcc, s40, v0
	s_waitcnt vmcnt(23)
	v_mul_f32_e32 v2, 0.5, v33
	v_addc_co_u32_e32 v1, vcc, v13, v1, vcc
	v_add_u32_e32 v8, s33, v8
	global_store_dword v[0:1], v2, off
	v_lshlrev_b64 v[0:1], 2, v[8:9]
	v_add_co_u32_e32 v0, vcc, s40, v0
	buffer_load_dword v2, off, s[0:3], 0 offset:112
	s_waitcnt vmcnt(17)
	v_mul_f32_e32 v3, 0.5, v3
	v_addc_co_u32_e32 v1, vcc, v13, v1, vcc
	v_add_u32_e32 v8, s33, v8
	global_store_dword v[0:1], v3, off
	buffer_load_dword v3, off, s[0:3], 0 offset:116
	v_lshlrev_b64 v[0:1], 2, v[8:9]
	v_add_co_u32_e32 v0, vcc, s40, v0
	s_waitcnt vmcnt(17)
	v_mul_f32_e32 v4, 0.5, v4
	v_addc_co_u32_e32 v1, vcc, v13, v1, vcc
	global_store_dword v[0:1], v4, off
	buffer_load_dword v4, off, s[0:3], 0 offset:120
	v_add_u32_e32 v8, s33, v8
	v_lshlrev_b64 v[0:1], 2, v[8:9]
	v_add_co_u32_e32 v0, vcc, s40, v0
	s_waitcnt vmcnt(17)
	v_mul_f32_e32 v5, 0.5, v5
	v_addc_co_u32_e32 v1, vcc, v13, v1, vcc
	v_add_u32_e32 v8, s33, v8
	global_store_dword v[0:1], v5, off
	buffer_load_dword v5, off, s[0:3], 0 offset:124
	v_lshlrev_b64 v[0:1], 2, v[8:9]
	v_add_co_u32_e32 v0, vcc, s40, v0
	s_waitcnt vmcnt(17)
	v_mul_f32_e32 v6, 0.5, v6
	v_addc_co_u32_e32 v1, vcc, v13, v1, vcc
	v_add_u32_e32 v8, s33, v8
	global_store_dword v[0:1], v6, off
	buffer_load_dword v6, off, s[0:3], 0 offset:128
	;; [unrolled: 8-line block ×4, first 2 shown]
	v_lshlrev_b64 v[0:1], 2, v[8:9]
	v_add_co_u32_e32 v0, vcc, s40, v0
	s_waitcnt vmcnt(17)
	v_mul_f32_e32 v11, 0.5, v11
	v_addc_co_u32_e32 v1, vcc, v13, v1, vcc
	global_store_dword v[0:1], v11, off
	buffer_load_dword v11, off, s[0:3], 0 offset:140
	v_add_u32_e32 v8, s33, v8
	v_lshlrev_b64 v[0:1], 2, v[8:9]
	v_add_co_u32_e32 v0, vcc, s40, v0
	s_waitcnt vmcnt(17)
	v_mul_f32_e32 v12, 0.5, v12
	v_addc_co_u32_e32 v1, vcc, v13, v1, vcc
	global_store_dword v[0:1], v12, off
	buffer_load_dword v12, off, s[0:3], 0 offset:144
	v_add_u32_e32 v8, s33, v8
	v_lshlrev_b64 v[0:1], 2, v[8:9]
	v_add_co_u32_e32 v0, vcc, s40, v0
	v_addc_co_u32_e32 v1, vcc, v13, v1, vcc
	v_add_u32_e32 v8, s33, v8
	buffer_load_dword v14, off, s[0:3], 0 offset:504
	s_waitcnt vmcnt(17)
	v_mul_f32_e32 v2, 0.5, v2
	global_store_dword v[0:1], v2, off
	v_lshlrev_b64 v[0:1], 2, v[8:9]
	v_add_co_u32_e32 v0, vcc, s40, v0
	v_addc_co_u32_e32 v1, vcc, v13, v1, vcc
	s_waitcnt vmcnt(16)
	v_mul_f32_e32 v2, 0.5, v3
	buffer_load_dword v3, off, s[0:3], 0 offset:148
	v_add_u32_e32 v8, s33, v8
	global_store_dword v[0:1], v2, off
	v_lshlrev_b64 v[0:1], 2, v[8:9]
	v_add_co_u32_e32 v0, vcc, s40, v0
	s_waitcnt vmcnt(16)
	v_mul_f32_e32 v2, 0.5, v4
	buffer_load_dword v4, off, s[0:3], 0 offset:152
	v_addc_co_u32_e32 v1, vcc, v13, v1, vcc
	v_add_u32_e32 v8, s33, v8
	global_store_dword v[0:1], v2, off
	v_lshlrev_b64 v[0:1], 2, v[8:9]
	v_add_co_u32_e32 v0, vcc, s40, v0
	v_addc_co_u32_e32 v1, vcc, v13, v1, vcc
	s_waitcnt vmcnt(16)
	v_mul_f32_e32 v2, 0.5, v5
	buffer_load_dword v5, off, s[0:3], 0 offset:156
	v_add_u32_e32 v8, s33, v8
	global_store_dword v[0:1], v2, off
	v_lshlrev_b64 v[0:1], 2, v[8:9]
	v_add_co_u32_e32 v0, vcc, s40, v0
	v_addc_co_u32_e32 v1, vcc, v13, v1, vcc
	s_waitcnt vmcnt(16)
	v_mul_f32_e32 v2, 0.5, v6
	buffer_load_dword v6, off, s[0:3], 0 offset:160
	;; [unrolled: 8-line block ×4, first 2 shown]
	v_add_u32_e32 v8, s33, v8
	global_store_dword v[0:1], v2, off
	v_lshlrev_b64 v[0:1], 2, v[8:9]
	v_add_co_u32_e32 v0, vcc, s40, v0
	s_waitcnt vmcnt(16)
	v_mul_f32_e32 v2, 0.5, v11
	buffer_load_dword v11, off, s[0:3], 0 offset:172
	v_addc_co_u32_e32 v1, vcc, v13, v1, vcc
	v_add_u32_e32 v8, s33, v8
	global_store_dword v[0:1], v2, off
	v_lshlrev_b64 v[0:1], 2, v[8:9]
	v_add_co_u32_e32 v0, vcc, s40, v0
	buffer_load_dword v2, off, s[0:3], 0 offset:176
	s_waitcnt vmcnt(17)
	v_mul_f32_e32 v12, 0.5, v12
	v_addc_co_u32_e32 v1, vcc, v13, v1, vcc
	global_store_dword v[0:1], v12, off
	buffer_load_dword v12, off, s[0:3], 0 offset:180
	v_add_u32_e32 v8, s33, v8
	v_lshlrev_b64 v[0:1], 2, v[8:9]
	v_add_co_u32_e32 v0, vcc, s40, v0
	v_addc_co_u32_e32 v1, vcc, v13, v1, vcc
	v_add_u32_e32 v8, s33, v8
	s_waitcnt vmcnt(16)
	v_mul_f32_e32 v3, 0.5, v3
	global_store_dword v[0:1], v3, off
	buffer_load_dword v3, off, s[0:3], 0 offset:184
	v_lshlrev_b64 v[0:1], 2, v[8:9]
	v_add_co_u32_e32 v0, vcc, s40, v0
	v_addc_co_u32_e32 v1, vcc, v13, v1, vcc
	s_waitcnt vmcnt(16)
	v_mul_f32_e32 v4, 0.5, v4
	global_store_dword v[0:1], v4, off
	buffer_load_dword v4, off, s[0:3], 0 offset:188
	v_add_u32_e32 v8, s33, v8
	v_lshlrev_b64 v[0:1], 2, v[8:9]
	v_add_co_u32_e32 v0, vcc, s40, v0
	v_addc_co_u32_e32 v1, vcc, v13, v1, vcc
	v_add_u32_e32 v8, s33, v8
	s_waitcnt vmcnt(16)
	v_mul_f32_e32 v5, 0.5, v5
	global_store_dword v[0:1], v5, off
	buffer_load_dword v5, off, s[0:3], 0 offset:192
	v_lshlrev_b64 v[0:1], 2, v[8:9]
	v_add_co_u32_e32 v0, vcc, s40, v0
	v_addc_co_u32_e32 v1, vcc, v13, v1, vcc
	v_add_u32_e32 v8, s33, v8
	s_waitcnt vmcnt(16)
	v_mul_f32_e32 v6, 0.5, v6
	global_store_dword v[0:1], v6, off
	buffer_load_dword v6, off, s[0:3], 0 offset:196
	;; [unrolled: 8-line block ×4, first 2 shown]
	v_lshlrev_b64 v[0:1], 2, v[8:9]
	v_add_co_u32_e32 v0, vcc, s40, v0
	v_addc_co_u32_e32 v1, vcc, v13, v1, vcc
	s_waitcnt vmcnt(16)
	v_mul_f32_e32 v11, 0.5, v11
	global_store_dword v[0:1], v11, off
	buffer_load_dword v11, off, s[0:3], 0 offset:208
	v_add_u32_e32 v8, s33, v8
	v_lshlrev_b64 v[0:1], 2, v[8:9]
	v_add_co_u32_e32 v0, vcc, s40, v0
	s_waitcnt vmcnt(16)
	v_mul_f32_e32 v2, 0.5, v2
	v_addc_co_u32_e32 v1, vcc, v13, v1, vcc
	global_store_dword v[0:1], v2, off
	v_add_u32_e32 v8, s33, v8
	s_waitcnt vmcnt(15)
	v_mul_f32_e32 v2, 0.5, v12
	buffer_load_dword v12, off, s[0:3], 0 offset:212
	v_lshlrev_b64 v[0:1], 2, v[8:9]
	v_add_co_u32_e32 v0, vcc, s40, v0
	v_addc_co_u32_e32 v1, vcc, v13, v1, vcc
	v_add_u32_e32 v8, s33, v8
	global_store_dword v[0:1], v2, off
	v_lshlrev_b64 v[0:1], 2, v[8:9]
	v_add_co_u32_e32 v0, vcc, s40, v0
	v_addc_co_u32_e32 v1, vcc, v13, v1, vcc
	v_add_u32_e32 v8, s33, v8
	s_waitcnt vmcnt(15)
	v_mul_f32_e32 v2, 0.5, v3
	buffer_load_dword v3, off, s[0:3], 0 offset:216
	s_nop 0
	global_store_dword v[0:1], v2, off
	v_lshlrev_b64 v[0:1], 2, v[8:9]
	v_add_co_u32_e32 v0, vcc, s40, v0
	v_addc_co_u32_e32 v1, vcc, v13, v1, vcc
	s_waitcnt vmcnt(15)
	v_mul_f32_e32 v2, 0.5, v4
	buffer_load_dword v4, off, s[0:3], 0 offset:220
	v_add_u32_e32 v8, s33, v8
	global_store_dword v[0:1], v2, off
	v_lshlrev_b64 v[0:1], 2, v[8:9]
	v_add_co_u32_e32 v0, vcc, s40, v0
	v_addc_co_u32_e32 v1, vcc, v13, v1, vcc
	s_waitcnt vmcnt(15)
	v_mul_f32_e32 v2, 0.5, v5
	buffer_load_dword v5, off, s[0:3], 0 offset:224
	v_add_u32_e32 v8, s33, v8
	;; [unrolled: 8-line block ×5, first 2 shown]
	global_store_dword v[0:1], v2, off
	v_lshlrev_b64 v[0:1], 2, v[8:9]
	v_add_co_u32_e32 v0, vcc, s40, v0
	buffer_load_dword v2, off, s[0:3], 0 offset:240
	s_waitcnt vmcnt(16)
	v_mul_f32_e32 v11, 0.5, v11
	v_addc_co_u32_e32 v1, vcc, v13, v1, vcc
	global_store_dword v[0:1], v11, off
	buffer_load_dword v11, off, s[0:3], 0 offset:244
	v_add_u32_e32 v8, s33, v8
	v_lshlrev_b64 v[0:1], 2, v[8:9]
	v_add_co_u32_e32 v0, vcc, s40, v0
	v_addc_co_u32_e32 v1, vcc, v13, v1, vcc
	s_waitcnt vmcnt(16)
	v_mul_f32_e32 v12, 0.5, v12
	global_store_dword v[0:1], v12, off
	buffer_load_dword v12, off, s[0:3], 0 offset:248
	v_add_u32_e32 v8, s33, v8
	v_lshlrev_b64 v[0:1], 2, v[8:9]
	v_add_co_u32_e32 v0, vcc, s40, v0
	v_addc_co_u32_e32 v1, vcc, v13, v1, vcc
	v_add_u32_e32 v8, s33, v8
	s_waitcnt vmcnt(16)
	v_mul_f32_e32 v3, 0.5, v3
	global_store_dword v[0:1], v3, off
	buffer_load_dword v3, off, s[0:3], 0 offset:252
	v_lshlrev_b64 v[0:1], 2, v[8:9]
	v_add_co_u32_e32 v0, vcc, s40, v0
	v_addc_co_u32_e32 v1, vcc, v13, v1, vcc
	v_add_u32_e32 v8, s33, v8
	s_waitcnt vmcnt(16)
	v_mul_f32_e32 v4, 0.5, v4
	global_store_dword v[0:1], v4, off
	buffer_load_dword v4, off, s[0:3], 0 offset:256
	;; [unrolled: 8-line block ×6, first 2 shown]
	v_lshlrev_b64 v[0:1], 2, v[8:9]
	v_add_co_u32_e32 v0, vcc, s40, v0
	s_waitcnt vmcnt(16)
	v_mul_f32_e32 v2, 0.5, v2
	v_addc_co_u32_e32 v1, vcc, v13, v1, vcc
	global_store_dword v[0:1], v2, off
	v_add_u32_e32 v8, s33, v8
	s_waitcnt vmcnt(15)
	v_mul_f32_e32 v2, 0.5, v11
	buffer_load_dword v11, off, s[0:3], 0 offset:276
	v_lshlrev_b64 v[0:1], 2, v[8:9]
	v_add_co_u32_e32 v0, vcc, s40, v0
	v_addc_co_u32_e32 v1, vcc, v13, v1, vcc
	global_store_dword v[0:1], v2, off
	v_add_u32_e32 v8, s33, v8
	s_waitcnt vmcnt(15)
	v_mul_f32_e32 v2, 0.5, v12
	buffer_load_dword v12, off, s[0:3], 0 offset:280
	v_lshlrev_b64 v[0:1], 2, v[8:9]
	v_add_co_u32_e32 v0, vcc, s40, v0
	v_addc_co_u32_e32 v1, vcc, v13, v1, vcc
	v_add_u32_e32 v8, s33, v8
	global_store_dword v[0:1], v2, off
	v_lshlrev_b64 v[0:1], 2, v[8:9]
	v_add_co_u32_e32 v0, vcc, s40, v0
	v_addc_co_u32_e32 v1, vcc, v13, v1, vcc
	v_add_u32_e32 v8, s33, v8
	s_waitcnt vmcnt(15)
	v_mul_f32_e32 v2, 0.5, v3
	buffer_load_dword v3, off, s[0:3], 0 offset:284
	s_nop 0
	global_store_dword v[0:1], v2, off
	v_lshlrev_b64 v[0:1], 2, v[8:9]
	v_add_co_u32_e32 v0, vcc, s40, v0
	v_addc_co_u32_e32 v1, vcc, v13, v1, vcc
	s_waitcnt vmcnt(15)
	v_mul_f32_e32 v2, 0.5, v4
	buffer_load_dword v4, off, s[0:3], 0 offset:288
	v_add_u32_e32 v8, s33, v8
	global_store_dword v[0:1], v2, off
	v_lshlrev_b64 v[0:1], 2, v[8:9]
	v_add_co_u32_e32 v0, vcc, s40, v0
	v_addc_co_u32_e32 v1, vcc, v13, v1, vcc
	s_waitcnt vmcnt(15)
	v_mul_f32_e32 v2, 0.5, v5
	buffer_load_dword v5, off, s[0:3], 0 offset:292
	v_add_u32_e32 v8, s33, v8
	;; [unrolled: 8-line block ×4, first 2 shown]
	global_store_dword v[0:1], v2, off
	v_lshlrev_b64 v[0:1], 2, v[8:9]
	v_add_co_u32_e32 v0, vcc, s40, v0
	buffer_load_dword v2, off, s[0:3], 0 offset:304
	v_addc_co_u32_e32 v1, vcc, v13, v1, vcc
	s_waitcnt vmcnt(16)
	v_mul_f32_e32 v10, 0.5, v10
	v_add_u32_e32 v8, s33, v8
	global_store_dword v[0:1], v10, off
	buffer_load_dword v10, off, s[0:3], 0 offset:308
	v_lshlrev_b64 v[0:1], 2, v[8:9]
	v_add_co_u32_e32 v0, vcc, s40, v0
	v_addc_co_u32_e32 v1, vcc, v13, v1, vcc
	s_waitcnt vmcnt(16)
	v_mul_f32_e32 v11, 0.5, v11
	global_store_dword v[0:1], v11, off
	buffer_load_dword v11, off, s[0:3], 0 offset:312
	v_add_u32_e32 v8, s33, v8
	v_lshlrev_b64 v[0:1], 2, v[8:9]
	v_add_co_u32_e32 v0, vcc, s40, v0
	v_addc_co_u32_e32 v1, vcc, v13, v1, vcc
	s_waitcnt vmcnt(16)
	v_mul_f32_e32 v12, 0.5, v12
	global_store_dword v[0:1], v12, off
	buffer_load_dword v12, off, s[0:3], 0 offset:316
	v_add_u32_e32 v8, s33, v8
	v_lshlrev_b64 v[0:1], 2, v[8:9]
	v_add_co_u32_e32 v0, vcc, s40, v0
	v_addc_co_u32_e32 v1, vcc, v13, v1, vcc
	v_add_u32_e32 v8, s33, v8
	s_waitcnt vmcnt(16)
	v_mul_f32_e32 v3, 0.5, v3
	global_store_dword v[0:1], v3, off
	buffer_load_dword v3, off, s[0:3], 0 offset:320
	v_lshlrev_b64 v[0:1], 2, v[8:9]
	v_add_co_u32_e32 v0, vcc, s40, v0
	v_addc_co_u32_e32 v1, vcc, v13, v1, vcc
	v_add_u32_e32 v8, s33, v8
	s_waitcnt vmcnt(16)
	v_mul_f32_e32 v4, 0.5, v4
	global_store_dword v[0:1], v4, off
	buffer_load_dword v4, off, s[0:3], 0 offset:324
	;; [unrolled: 8-line block ×5, first 2 shown]
	v_lshlrev_b64 v[0:1], 2, v[8:9]
	v_add_co_u32_e32 v0, vcc, s40, v0
	s_waitcnt vmcnt(16)
	v_mul_f32_e32 v2, 0.5, v2
	v_addc_co_u32_e32 v1, vcc, v13, v1, vcc
	v_add_u32_e32 v8, s33, v8
	global_store_dword v[0:1], v2, off
	v_lshlrev_b64 v[0:1], 2, v[8:9]
	s_waitcnt vmcnt(15)
	v_mul_f32_e32 v2, 0.5, v10
	buffer_load_dword v10, off, s[0:3], 0 offset:340
	v_add_co_u32_e32 v0, vcc, s40, v0
	v_addc_co_u32_e32 v1, vcc, v13, v1, vcc
	global_store_dword v[0:1], v2, off
	v_add_u32_e32 v8, s33, v8
	s_waitcnt vmcnt(15)
	v_mul_f32_e32 v2, 0.5, v11
	buffer_load_dword v11, off, s[0:3], 0 offset:344
	v_lshlrev_b64 v[0:1], 2, v[8:9]
	v_add_co_u32_e32 v0, vcc, s40, v0
	v_addc_co_u32_e32 v1, vcc, v13, v1, vcc
	global_store_dword v[0:1], v2, off
	v_add_u32_e32 v8, s33, v8
	s_waitcnt vmcnt(15)
	v_mul_f32_e32 v2, 0.5, v12
	buffer_load_dword v12, off, s[0:3], 0 offset:348
	v_lshlrev_b64 v[0:1], 2, v[8:9]
	v_add_co_u32_e32 v0, vcc, s40, v0
	v_addc_co_u32_e32 v1, vcc, v13, v1, vcc
	v_add_u32_e32 v8, s33, v8
	global_store_dword v[0:1], v2, off
	v_lshlrev_b64 v[0:1], 2, v[8:9]
	v_add_co_u32_e32 v0, vcc, s40, v0
	v_addc_co_u32_e32 v1, vcc, v13, v1, vcc
	v_add_u32_e32 v8, s33, v8
	s_waitcnt vmcnt(15)
	v_mul_f32_e32 v2, 0.5, v3
	buffer_load_dword v3, off, s[0:3], 0 offset:352
	s_nop 0
	global_store_dword v[0:1], v2, off
	v_lshlrev_b64 v[0:1], 2, v[8:9]
	v_add_co_u32_e32 v0, vcc, s40, v0
	v_addc_co_u32_e32 v1, vcc, v13, v1, vcc
	s_waitcnt vmcnt(15)
	v_mul_f32_e32 v2, 0.5, v4
	buffer_load_dword v4, off, s[0:3], 0 offset:356
	v_add_u32_e32 v8, s33, v8
	global_store_dword v[0:1], v2, off
	v_lshlrev_b64 v[0:1], 2, v[8:9]
	v_add_co_u32_e32 v0, vcc, s40, v0
	v_addc_co_u32_e32 v1, vcc, v13, v1, vcc
	s_waitcnt vmcnt(15)
	v_mul_f32_e32 v2, 0.5, v5
	buffer_load_dword v5, off, s[0:3], 0 offset:360
	v_add_u32_e32 v8, s33, v8
	;; [unrolled: 8-line block ×3, first 2 shown]
	global_store_dword v[0:1], v2, off
	v_lshlrev_b64 v[0:1], 2, v[8:9]
	v_add_co_u32_e32 v0, vcc, s40, v0
	buffer_load_dword v2, off, s[0:3], 0 offset:368
	v_addc_co_u32_e32 v1, vcc, v13, v1, vcc
	s_waitcnt vmcnt(16)
	v_mul_f32_e32 v7, 0.5, v7
	v_add_u32_e32 v8, s33, v8
	global_store_dword v[0:1], v7, off
	buffer_load_dword v7, off, s[0:3], 0 offset:372
	v_lshlrev_b64 v[0:1], 2, v[8:9]
	v_add_co_u32_e32 v0, vcc, s40, v0
	v_addc_co_u32_e32 v1, vcc, v13, v1, vcc
	v_add_u32_e32 v8, s33, v8
	s_waitcnt vmcnt(16)
	v_mul_f32_e32 v10, 0.5, v10
	global_store_dword v[0:1], v10, off
	buffer_load_dword v10, off, s[0:3], 0 offset:376
	v_lshlrev_b64 v[0:1], 2, v[8:9]
	v_add_co_u32_e32 v0, vcc, s40, v0
	v_addc_co_u32_e32 v1, vcc, v13, v1, vcc
	s_waitcnt vmcnt(16)
	v_mul_f32_e32 v11, 0.5, v11
	global_store_dword v[0:1], v11, off
	buffer_load_dword v11, off, s[0:3], 0 offset:380
	v_add_u32_e32 v8, s33, v8
	v_lshlrev_b64 v[0:1], 2, v[8:9]
	v_add_co_u32_e32 v0, vcc, s40, v0
	v_addc_co_u32_e32 v1, vcc, v13, v1, vcc
	s_waitcnt vmcnt(16)
	v_mul_f32_e32 v12, 0.5, v12
	global_store_dword v[0:1], v12, off
	buffer_load_dword v12, off, s[0:3], 0 offset:384
	v_add_u32_e32 v8, s33, v8
	v_lshlrev_b64 v[0:1], 2, v[8:9]
	v_add_co_u32_e32 v0, vcc, s40, v0
	v_addc_co_u32_e32 v1, vcc, v13, v1, vcc
	v_add_u32_e32 v8, s33, v8
	s_waitcnt vmcnt(16)
	v_mul_f32_e32 v3, 0.5, v3
	global_store_dword v[0:1], v3, off
	buffer_load_dword v3, off, s[0:3], 0 offset:388
	v_lshlrev_b64 v[0:1], 2, v[8:9]
	v_add_co_u32_e32 v0, vcc, s40, v0
	v_addc_co_u32_e32 v1, vcc, v13, v1, vcc
	v_add_u32_e32 v8, s33, v8
	s_waitcnt vmcnt(16)
	v_mul_f32_e32 v4, 0.5, v4
	global_store_dword v[0:1], v4, off
	buffer_load_dword v4, off, s[0:3], 0 offset:392
	;; [unrolled: 8-line block ×4, first 2 shown]
	v_lshlrev_b64 v[0:1], 2, v[8:9]
	v_add_co_u32_e32 v0, vcc, s40, v0
	s_waitcnt vmcnt(16)
	v_mul_f32_e32 v2, 0.5, v2
	v_addc_co_u32_e32 v1, vcc, v13, v1, vcc
	v_add_u32_e32 v8, s33, v8
	global_store_dword v[0:1], v2, off
	v_lshlrev_b64 v[0:1], 2, v[8:9]
	s_waitcnt vmcnt(15)
	v_mul_f32_e32 v2, 0.5, v7
	buffer_load_dword v7, off, s[0:3], 0 offset:404
	v_add_co_u32_e32 v0, vcc, s40, v0
	v_addc_co_u32_e32 v1, vcc, v13, v1, vcc
	v_add_u32_e32 v8, s33, v8
	global_store_dword v[0:1], v2, off
	v_lshlrev_b64 v[0:1], 2, v[8:9]
	s_waitcnt vmcnt(15)
	v_mul_f32_e32 v2, 0.5, v10
	buffer_load_dword v10, off, s[0:3], 0 offset:408
	v_add_co_u32_e32 v0, vcc, s40, v0
	v_addc_co_u32_e32 v1, vcc, v13, v1, vcc
	global_store_dword v[0:1], v2, off
	v_add_u32_e32 v8, s33, v8
	s_waitcnt vmcnt(15)
	v_mul_f32_e32 v2, 0.5, v11
	buffer_load_dword v11, off, s[0:3], 0 offset:412
	v_lshlrev_b64 v[0:1], 2, v[8:9]
	v_add_co_u32_e32 v0, vcc, s40, v0
	v_addc_co_u32_e32 v1, vcc, v13, v1, vcc
	global_store_dword v[0:1], v2, off
	v_add_u32_e32 v8, s33, v8
	s_waitcnt vmcnt(15)
	v_mul_f32_e32 v2, 0.5, v12
	buffer_load_dword v12, off, s[0:3], 0 offset:416
	v_lshlrev_b64 v[0:1], 2, v[8:9]
	v_add_co_u32_e32 v0, vcc, s40, v0
	v_addc_co_u32_e32 v1, vcc, v13, v1, vcc
	v_add_u32_e32 v8, s33, v8
	global_store_dword v[0:1], v2, off
	v_lshlrev_b64 v[0:1], 2, v[8:9]
	v_add_co_u32_e32 v0, vcc, s40, v0
	v_addc_co_u32_e32 v1, vcc, v13, v1, vcc
	v_add_u32_e32 v8, s33, v8
	s_waitcnt vmcnt(15)
	v_mul_f32_e32 v2, 0.5, v3
	buffer_load_dword v3, off, s[0:3], 0 offset:420
	s_nop 0
	global_store_dword v[0:1], v2, off
	v_lshlrev_b64 v[0:1], 2, v[8:9]
	v_add_co_u32_e32 v0, vcc, s40, v0
	v_addc_co_u32_e32 v1, vcc, v13, v1, vcc
	s_waitcnt vmcnt(15)
	v_mul_f32_e32 v2, 0.5, v4
	buffer_load_dword v4, off, s[0:3], 0 offset:424
	v_add_u32_e32 v8, s33, v8
	global_store_dword v[0:1], v2, off
	v_lshlrev_b64 v[0:1], 2, v[8:9]
	v_add_co_u32_e32 v0, vcc, s40, v0
	v_addc_co_u32_e32 v1, vcc, v13, v1, vcc
	s_waitcnt vmcnt(15)
	v_mul_f32_e32 v2, 0.5, v5
	buffer_load_dword v5, off, s[0:3], 0 offset:428
	v_add_u32_e32 v8, s33, v8
	global_store_dword v[0:1], v2, off
	v_lshlrev_b64 v[0:1], 2, v[8:9]
	v_add_co_u32_e32 v0, vcc, s40, v0
	buffer_load_dword v2, off, s[0:3], 0 offset:432
	v_addc_co_u32_e32 v1, vcc, v13, v1, vcc
	s_waitcnt vmcnt(16)
	v_mul_f32_e32 v6, 0.5, v6
	v_add_u32_e32 v8, s33, v8
	global_store_dword v[0:1], v6, off
	buffer_load_dword v6, off, s[0:3], 0 offset:436
	v_lshlrev_b64 v[0:1], 2, v[8:9]
	v_add_co_u32_e32 v0, vcc, s40, v0
	v_addc_co_u32_e32 v1, vcc, v13, v1, vcc
	v_add_u32_e32 v8, s33, v8
	s_waitcnt vmcnt(16)
	v_mul_f32_e32 v7, 0.5, v7
	global_store_dword v[0:1], v7, off
	buffer_load_dword v7, off, s[0:3], 0 offset:440
	v_lshlrev_b64 v[0:1], 2, v[8:9]
	v_add_co_u32_e32 v0, vcc, s40, v0
	v_addc_co_u32_e32 v1, vcc, v13, v1, vcc
	v_add_u32_e32 v8, s33, v8
	s_waitcnt vmcnt(16)
	v_mul_f32_e32 v10, 0.5, v10
	global_store_dword v[0:1], v10, off
	buffer_load_dword v10, off, s[0:3], 0 offset:444
	v_lshlrev_b64 v[0:1], 2, v[8:9]
	v_add_co_u32_e32 v0, vcc, s40, v0
	v_addc_co_u32_e32 v1, vcc, v13, v1, vcc
	s_waitcnt vmcnt(16)
	v_mul_f32_e32 v11, 0.5, v11
	global_store_dword v[0:1], v11, off
	buffer_load_dword v11, off, s[0:3], 0 offset:448
	v_add_u32_e32 v8, s33, v8
	v_lshlrev_b64 v[0:1], 2, v[8:9]
	v_add_co_u32_e32 v0, vcc, s40, v0
	v_addc_co_u32_e32 v1, vcc, v13, v1, vcc
	s_waitcnt vmcnt(16)
	v_mul_f32_e32 v12, 0.5, v12
	global_store_dword v[0:1], v12, off
	buffer_load_dword v12, off, s[0:3], 0 offset:452
	v_add_u32_e32 v8, s33, v8
	v_lshlrev_b64 v[0:1], 2, v[8:9]
	v_add_co_u32_e32 v0, vcc, s40, v0
	v_addc_co_u32_e32 v1, vcc, v13, v1, vcc
	v_add_u32_e32 v8, s33, v8
	s_waitcnt vmcnt(16)
	v_mul_f32_e32 v3, 0.5, v3
	global_store_dword v[0:1], v3, off
	buffer_load_dword v3, off, s[0:3], 0 offset:456
	v_lshlrev_b64 v[0:1], 2, v[8:9]
	v_add_co_u32_e32 v0, vcc, s40, v0
	v_addc_co_u32_e32 v1, vcc, v13, v1, vcc
	v_add_u32_e32 v8, s33, v8
	s_waitcnt vmcnt(16)
	v_mul_f32_e32 v4, 0.5, v4
	global_store_dword v[0:1], v4, off
	buffer_load_dword v4, off, s[0:3], 0 offset:460
	v_lshlrev_b64 v[0:1], 2, v[8:9]
	v_add_co_u32_e32 v0, vcc, s40, v0
	v_addc_co_u32_e32 v1, vcc, v13, v1, vcc
	v_add_u32_e32 v8, s33, v8
	s_waitcnt vmcnt(16)
	v_mul_f32_e32 v5, 0.5, v5
	global_store_dword v[0:1], v5, off
	v_lshlrev_b64 v[0:1], 2, v[8:9]
	v_add_co_u32_e32 v0, vcc, s40, v0
	buffer_load_dword v5, off, s[0:3], 0 offset:464
	s_waitcnt vmcnt(16)
	v_mul_f32_e32 v2, 0.5, v2
	v_addc_co_u32_e32 v1, vcc, v13, v1, vcc
	v_add_u32_e32 v8, s33, v8
	global_store_dword v[0:1], v2, off
	v_lshlrev_b64 v[0:1], 2, v[8:9]
	s_waitcnt vmcnt(15)
	v_mul_f32_e32 v2, 0.5, v6
	buffer_load_dword v6, off, s[0:3], 0 offset:468
	v_add_co_u32_e32 v0, vcc, s40, v0
	v_addc_co_u32_e32 v1, vcc, v13, v1, vcc
	v_add_u32_e32 v8, s33, v8
	global_store_dword v[0:1], v2, off
	v_lshlrev_b64 v[0:1], 2, v[8:9]
	s_waitcnt vmcnt(15)
	v_mul_f32_e32 v2, 0.5, v7
	buffer_load_dword v7, off, s[0:3], 0 offset:472
	v_add_co_u32_e32 v0, vcc, s40, v0
	;; [unrolled: 8-line block ×3, first 2 shown]
	v_addc_co_u32_e32 v1, vcc, v13, v1, vcc
	global_store_dword v[0:1], v2, off
	v_add_u32_e32 v8, s33, v8
	s_waitcnt vmcnt(15)
	v_mul_f32_e32 v2, 0.5, v11
	buffer_load_dword v11, off, s[0:3], 0 offset:480
	v_lshlrev_b64 v[0:1], 2, v[8:9]
	v_add_co_u32_e32 v0, vcc, s40, v0
	v_addc_co_u32_e32 v1, vcc, v13, v1, vcc
	global_store_dword v[0:1], v2, off
	v_add_u32_e32 v8, s33, v8
	s_waitcnt vmcnt(15)
	v_mul_f32_e32 v2, 0.5, v12
	buffer_load_dword v12, off, s[0:3], 0 offset:484
	v_lshlrev_b64 v[0:1], 2, v[8:9]
	v_add_co_u32_e32 v0, vcc, s40, v0
	v_addc_co_u32_e32 v1, vcc, v13, v1, vcc
	v_add_u32_e32 v8, s33, v8
	global_store_dword v[0:1], v2, off
	v_lshlrev_b64 v[0:1], 2, v[8:9]
	v_add_co_u32_e32 v0, vcc, s40, v0
	v_addc_co_u32_e32 v1, vcc, v13, v1, vcc
	v_add_u32_e32 v8, s33, v8
	s_waitcnt vmcnt(15)
	v_mul_f32_e32 v2, 0.5, v3
	buffer_load_dword v3, off, s[0:3], 0 offset:488
	s_nop 0
	global_store_dword v[0:1], v2, off
	v_lshlrev_b64 v[0:1], 2, v[8:9]
	v_add_co_u32_e32 v0, vcc, s40, v0
	v_addc_co_u32_e32 v1, vcc, v13, v1, vcc
	s_waitcnt vmcnt(15)
	v_mul_f32_e32 v2, 0.5, v4
	buffer_load_dword v4, off, s[0:3], 0 offset:492
	v_add_u32_e32 v8, s33, v8
	global_store_dword v[0:1], v2, off
	buffer_load_dword v2, off, s[0:3], 0 offset:496
	v_lshlrev_b64 v[0:1], 2, v[8:9]
	v_add_co_u32_e32 v0, vcc, s40, v0
	v_addc_co_u32_e32 v1, vcc, v13, v1, vcc
	buffer_load_dword v13, off, s[0:3], 0 offset:500
	v_add_u32_e32 v8, s33, v8
	s_waitcnt vmcnt(17)
	v_mul_f32_e32 v5, 0.5, v5
	global_store_dword v[0:1], v5, off
	v_lshlrev_b64 v[0:1], 2, v[8:9]
	v_add_co_u32_e32 v0, vcc, s40, v0
	v_add_u32_e32 v8, s33, v8
	s_waitcnt vmcnt(16)
	v_mul_f32_e32 v5, 0.5, v6
	v_mov_b32_e32 v6, s41
	v_addc_co_u32_e32 v1, vcc, v6, v1, vcc
	global_store_dword v[0:1], v5, off
	v_lshlrev_b64 v[0:1], 2, v[8:9]
	v_add_co_u32_e32 v0, vcc, s40, v0
	v_addc_co_u32_e32 v1, vcc, v6, v1, vcc
	s_waitcnt vmcnt(15)
	v_mul_f32_e32 v5, 0.5, v7
	buffer_load_dword v7, off, s[0:3], 0 offset:508
	v_add_u32_e32 v8, s33, v8
	global_store_dword v[0:1], v5, off
	v_lshlrev_b64 v[0:1], 2, v[8:9]
	v_add_co_u32_e32 v0, vcc, s40, v0
	v_addc_co_u32_e32 v1, vcc, v6, v1, vcc
	s_waitcnt vmcnt(15)
	v_mul_f32_e32 v5, 0.5, v10
	buffer_load_dword v10, off, s[0:3], 0 offset:512
	v_add_u32_e32 v8, s33, v8
	global_store_dword v[0:1], v5, off
	v_lshlrev_b64 v[0:1], 2, v[8:9]
	v_add_co_u32_e32 v0, vcc, s40, v0
	s_waitcnt vmcnt(15)
	v_mul_f32_e32 v5, 0.5, v11
	buffer_load_dword v11, off, s[0:3], 0 offset:516
	v_addc_co_u32_e32 v1, vcc, v6, v1, vcc
	buffer_load_dword v6, off, s[0:3], 0 offset:520
	v_add_u32_e32 v8, s33, v8
	global_store_dword v[0:1], v5, off
	v_lshlrev_b64 v[0:1], 2, v[8:9]
	v_add_co_u32_e32 v0, vcc, s40, v0
	s_waitcnt vmcnt(16)
	v_mul_f32_e32 v5, 0.5, v12
	v_mov_b32_e32 v12, s41
	v_addc_co_u32_e32 v1, vcc, v12, v1, vcc
	global_store_dword v[0:1], v5, off
	buffer_load_dword v5, off, s[0:3], 0 offset:524
	v_add_u32_e32 v8, s33, v8
	v_lshlrev_b64 v[0:1], 2, v[8:9]
	v_add_co_u32_e32 v0, vcc, s40, v0
	v_addc_co_u32_e32 v1, vcc, v12, v1, vcc
	v_add_u32_e32 v8, s33, v8
	s_waitcnt vmcnt(16)
	v_mul_f32_e32 v3, 0.5, v3
	global_store_dword v[0:1], v3, off
	v_lshlrev_b64 v[0:1], 2, v[8:9]
	v_add_co_u32_e32 v0, vcc, s40, v0
	v_add_u32_e32 v8, s33, v8
	s_waitcnt vmcnt(15)
	v_mul_f32_e32 v3, 0.5, v4
	v_mov_b32_e32 v4, s41
	v_addc_co_u32_e32 v1, vcc, v4, v1, vcc
	global_store_dword v[0:1], v3, off
	v_lshlrev_b64 v[0:1], 2, v[8:9]
	v_mov_b32_e32 v3, s41
	v_add_co_u32_e32 v0, vcc, s40, v0
	s_waitcnt vmcnt(14)
	v_mul_f32_e32 v2, 0.5, v2
	v_addc_co_u32_e32 v1, vcc, v3, v1, vcc
	v_add_u32_e32 v8, s33, v8
	global_store_dword v[0:1], v2, off
	v_lshlrev_b64 v[0:1], 2, v[8:9]
	v_add_co_u32_e32 v0, vcc, s40, v0
	s_waitcnt vmcnt(14)
	v_mul_f32_e32 v2, 0.5, v13
	v_addc_co_u32_e32 v1, vcc, v3, v1, vcc
	v_add_u32_e32 v8, s33, v8
	global_store_dword v[0:1], v2, off
	v_lshlrev_b64 v[0:1], 2, v[8:9]
	v_add_co_u32_e32 v0, vcc, s40, v0
	v_mul_f32_e32 v2, 0.5, v14
	v_addc_co_u32_e32 v1, vcc, v3, v1, vcc
	v_add_u32_e32 v8, s33, v8
	global_store_dword v[0:1], v2, off
	v_lshlrev_b64 v[0:1], 2, v[8:9]
	v_add_co_u32_e32 v0, vcc, s40, v0
	s_waitcnt vmcnt(13)
	v_mul_f32_e32 v2, 0.5, v7
	v_addc_co_u32_e32 v1, vcc, v3, v1, vcc
	v_add_u32_e32 v8, s33, v8
	global_store_dword v[0:1], v2, off
	v_lshlrev_b64 v[0:1], 2, v[8:9]
	v_add_co_u32_e32 v0, vcc, s40, v0
	s_waitcnt vmcnt(12)
	;; [unrolled: 7-line block ×5, first 2 shown]
	v_mul_f32_e32 v2, 0.5, v5
	v_addc_co_u32_e32 v1, vcc, v3, v1, vcc
	global_store_dword v[0:1], v2, off
.LBB7_36:
	s_endpgm
	.section	.rodata,"a",@progbits
	.p2align	6, 0x0
	.amdhsa_kernel _ZL11fasten_mainILm128EEviiPK4AtomS2_PKfS4_S4_S4_S4_S4_PfPK8FFParamsi
		.amdhsa_group_segment_fixed_size 0
		.amdhsa_private_segment_fixed_size 8208
		.amdhsa_kernarg_size 352
		.amdhsa_user_sgpr_count 8
		.amdhsa_user_sgpr_private_segment_buffer 1
		.amdhsa_user_sgpr_dispatch_ptr 0
		.amdhsa_user_sgpr_queue_ptr 0
		.amdhsa_user_sgpr_kernarg_segment_ptr 1
		.amdhsa_user_sgpr_dispatch_id 0
		.amdhsa_user_sgpr_flat_scratch_init 1
		.amdhsa_user_sgpr_kernarg_preload_length 0
		.amdhsa_user_sgpr_kernarg_preload_offset 0
		.amdhsa_user_sgpr_private_segment_size 0
		.amdhsa_uses_dynamic_stack 0
		.amdhsa_system_sgpr_private_segment_wavefront_offset 1
		.amdhsa_system_sgpr_workgroup_id_x 1
		.amdhsa_system_sgpr_workgroup_id_y 0
		.amdhsa_system_sgpr_workgroup_id_z 0
		.amdhsa_system_sgpr_workgroup_info 0
		.amdhsa_system_vgpr_workitem_id 0
		.amdhsa_next_free_vgpr 70
		.amdhsa_next_free_sgpr 52
		.amdhsa_accum_offset 72
		.amdhsa_reserve_vcc 1
		.amdhsa_reserve_flat_scratch 0
		.amdhsa_float_round_mode_32 0
		.amdhsa_float_round_mode_16_64 0
		.amdhsa_float_denorm_mode_32 3
		.amdhsa_float_denorm_mode_16_64 3
		.amdhsa_dx10_clamp 1
		.amdhsa_ieee_mode 1
		.amdhsa_fp16_overflow 0
		.amdhsa_tg_split 0
		.amdhsa_exception_fp_ieee_invalid_op 0
		.amdhsa_exception_fp_denorm_src 0
		.amdhsa_exception_fp_ieee_div_zero 0
		.amdhsa_exception_fp_ieee_overflow 0
		.amdhsa_exception_fp_ieee_underflow 0
		.amdhsa_exception_fp_ieee_inexact 0
		.amdhsa_exception_int_div_zero 0
	.end_amdhsa_kernel
	.section	.text._ZL11fasten_mainILm128EEviiPK4AtomS2_PKfS4_S4_S4_S4_S4_PfPK8FFParamsi,"axG",@progbits,_ZL11fasten_mainILm128EEviiPK4AtomS2_PKfS4_S4_S4_S4_S4_PfPK8FFParamsi,comdat
.Lfunc_end7:
	.size	_ZL11fasten_mainILm128EEviiPK4AtomS2_PKfS4_S4_S4_S4_S4_PfPK8FFParamsi, .Lfunc_end7-_ZL11fasten_mainILm128EEviiPK4AtomS2_PKfS4_S4_S4_S4_S4_PfPK8FFParamsi
                                        ; -- End function
	.section	.AMDGPU.csdata,"",@progbits
; Kernel info:
; codeLenInByte = 13264
; NumSgprs: 56
; NumVgprs: 70
; NumAgprs: 0
; TotalNumVgprs: 70
; ScratchSize: 8208
; MemoryBound: 0
; FloatMode: 240
; IeeeMode: 1
; LDSByteSize: 0 bytes/workgroup (compile time only)
; SGPRBlocks: 6
; VGPRBlocks: 8
; NumSGPRsForWavesPerEU: 56
; NumVGPRsForWavesPerEU: 70
; AccumOffset: 72
; Occupancy: 7
; WaveLimiterHint : 1
; COMPUTE_PGM_RSRC2:SCRATCH_EN: 1
; COMPUTE_PGM_RSRC2:USER_SGPR: 8
; COMPUTE_PGM_RSRC2:TRAP_HANDLER: 0
; COMPUTE_PGM_RSRC2:TGID_X_EN: 1
; COMPUTE_PGM_RSRC2:TGID_Y_EN: 0
; COMPUTE_PGM_RSRC2:TGID_Z_EN: 0
; COMPUTE_PGM_RSRC2:TIDIG_COMP_CNT: 0
; COMPUTE_PGM_RSRC3_GFX90A:ACCUM_OFFSET: 17
; COMPUTE_PGM_RSRC3_GFX90A:TG_SPLIT: 0
	.text
	.p2alignl 6, 3212836864
	.fill 256, 4, 3212836864
	.type	__hip_cuid_bb5cd286eda231b4,@object ; @__hip_cuid_bb5cd286eda231b4
	.section	.bss,"aw",@nobits
	.globl	__hip_cuid_bb5cd286eda231b4
__hip_cuid_bb5cd286eda231b4:
	.byte	0                               ; 0x0
	.size	__hip_cuid_bb5cd286eda231b4, 1

	.ident	"AMD clang version 19.0.0git (https://github.com/RadeonOpenCompute/llvm-project roc-6.4.0 25133 c7fe45cf4b819c5991fe208aaa96edf142730f1d)"
	.section	".note.GNU-stack","",@progbits
	.addrsig
	.addrsig_sym __hip_cuid_bb5cd286eda231b4
	.amdgpu_metadata
---
amdhsa.kernels:
  - .agpr_count:     0
    .args:
      - .offset:         0
        .size:           4
        .value_kind:     by_value
      - .offset:         4
        .size:           4
        .value_kind:     by_value
      - .address_space:  global
        .offset:         8
        .size:           8
        .value_kind:     global_buffer
      - .address_space:  global
        .offset:         16
        .size:           8
        .value_kind:     global_buffer
      - .address_space:  global
        .offset:         24
        .size:           8
        .value_kind:     global_buffer
      - .address_space:  global
        .offset:         32
        .size:           8
        .value_kind:     global_buffer
      - .address_space:  global
        .offset:         40
        .size:           8
        .value_kind:     global_buffer
      - .address_space:  global
        .offset:         48
        .size:           8
        .value_kind:     global_buffer
      - .address_space:  global
        .offset:         56
        .size:           8
        .value_kind:     global_buffer
      - .address_space:  global
        .offset:         64
        .size:           8
        .value_kind:     global_buffer
      - .address_space:  global
        .offset:         72
        .size:           8
        .value_kind:     global_buffer
      - .address_space:  global
        .offset:         80
        .size:           8
        .value_kind:     global_buffer
      - .offset:         88
        .size:           4
        .value_kind:     by_value
      - .offset:         96
        .size:           4
        .value_kind:     hidden_block_count_x
      - .offset:         100
        .size:           4
        .value_kind:     hidden_block_count_y
      - .offset:         104
        .size:           4
        .value_kind:     hidden_block_count_z
      - .offset:         108
        .size:           2
        .value_kind:     hidden_group_size_x
      - .offset:         110
        .size:           2
        .value_kind:     hidden_group_size_y
      - .offset:         112
        .size:           2
        .value_kind:     hidden_group_size_z
      - .offset:         114
        .size:           2
        .value_kind:     hidden_remainder_x
      - .offset:         116
        .size:           2
        .value_kind:     hidden_remainder_y
      - .offset:         118
        .size:           2
        .value_kind:     hidden_remainder_z
      - .offset:         136
        .size:           8
        .value_kind:     hidden_global_offset_x
      - .offset:         144
        .size:           8
        .value_kind:     hidden_global_offset_y
      - .offset:         152
        .size:           8
        .value_kind:     hidden_global_offset_z
      - .offset:         160
        .size:           2
        .value_kind:     hidden_grid_dims
    .group_segment_fixed_size: 0
    .kernarg_segment_align: 8
    .kernarg_segment_size: 352
    .language:       OpenCL C
    .language_version:
      - 2
      - 0
    .max_flat_workgroup_size: 1024
    .name:           _ZL11fasten_mainILm1EEviiPK4AtomS2_PKfS4_S4_S4_S4_S4_PfPK8FFParamsi
    .private_segment_fixed_size: 0
    .sgpr_count:     56
    .sgpr_spill_count: 0
    .symbol:         _ZL11fasten_mainILm1EEviiPK4AtomS2_PKfS4_S4_S4_S4_S4_PfPK8FFParamsi.kd
    .uniform_work_group_size: 1
    .uses_dynamic_stack: false
    .vgpr_count:     46
    .vgpr_spill_count: 0
    .wavefront_size: 64
  - .agpr_count:     0
    .args:
      - .offset:         0
        .size:           4
        .value_kind:     by_value
      - .offset:         4
        .size:           4
        .value_kind:     by_value
      - .address_space:  global
        .offset:         8
        .size:           8
        .value_kind:     global_buffer
      - .address_space:  global
        .offset:         16
        .size:           8
        .value_kind:     global_buffer
      - .address_space:  global
        .offset:         24
        .size:           8
        .value_kind:     global_buffer
      - .address_space:  global
        .offset:         32
        .size:           8
        .value_kind:     global_buffer
      - .address_space:  global
        .offset:         40
        .size:           8
        .value_kind:     global_buffer
      - .address_space:  global
        .offset:         48
        .size:           8
        .value_kind:     global_buffer
      - .address_space:  global
        .offset:         56
        .size:           8
        .value_kind:     global_buffer
      - .address_space:  global
        .offset:         64
        .size:           8
        .value_kind:     global_buffer
      - .address_space:  global
        .offset:         72
        .size:           8
        .value_kind:     global_buffer
      - .address_space:  global
        .offset:         80
        .size:           8
        .value_kind:     global_buffer
      - .offset:         88
        .size:           4
        .value_kind:     by_value
      - .offset:         96
        .size:           4
        .value_kind:     hidden_block_count_x
      - .offset:         100
        .size:           4
        .value_kind:     hidden_block_count_y
      - .offset:         104
        .size:           4
        .value_kind:     hidden_block_count_z
      - .offset:         108
        .size:           2
        .value_kind:     hidden_group_size_x
      - .offset:         110
        .size:           2
        .value_kind:     hidden_group_size_y
      - .offset:         112
        .size:           2
        .value_kind:     hidden_group_size_z
      - .offset:         114
        .size:           2
        .value_kind:     hidden_remainder_x
      - .offset:         116
        .size:           2
        .value_kind:     hidden_remainder_y
      - .offset:         118
        .size:           2
        .value_kind:     hidden_remainder_z
      - .offset:         136
        .size:           8
        .value_kind:     hidden_global_offset_x
      - .offset:         144
        .size:           8
        .value_kind:     hidden_global_offset_y
      - .offset:         152
        .size:           8
        .value_kind:     hidden_global_offset_z
      - .offset:         160
        .size:           2
        .value_kind:     hidden_grid_dims
    .group_segment_fixed_size: 0
    .kernarg_segment_align: 8
    .kernarg_segment_size: 352
    .language:       OpenCL C
    .language_version:
      - 2
      - 0
    .max_flat_workgroup_size: 1024
    .name:           _ZL11fasten_mainILm2EEviiPK4AtomS2_PKfS4_S4_S4_S4_S4_PfPK8FFParamsi
    .private_segment_fixed_size: 112
    .sgpr_count:     56
    .sgpr_spill_count: 0
    .symbol:         _ZL11fasten_mainILm2EEviiPK4AtomS2_PKfS4_S4_S4_S4_S4_PfPK8FFParamsi.kd
    .uniform_work_group_size: 1
    .uses_dynamic_stack: false
    .vgpr_count:     64
    .vgpr_spill_count: 0
    .wavefront_size: 64
  - .agpr_count:     0
    .args:
      - .offset:         0
        .size:           4
        .value_kind:     by_value
      - .offset:         4
        .size:           4
        .value_kind:     by_value
      - .address_space:  global
        .offset:         8
        .size:           8
        .value_kind:     global_buffer
      - .address_space:  global
        .offset:         16
        .size:           8
        .value_kind:     global_buffer
      - .address_space:  global
        .offset:         24
        .size:           8
        .value_kind:     global_buffer
      - .address_space:  global
        .offset:         32
        .size:           8
        .value_kind:     global_buffer
      - .address_space:  global
        .offset:         40
        .size:           8
        .value_kind:     global_buffer
      - .address_space:  global
        .offset:         48
        .size:           8
        .value_kind:     global_buffer
      - .address_space:  global
        .offset:         56
        .size:           8
        .value_kind:     global_buffer
      - .address_space:  global
        .offset:         64
        .size:           8
        .value_kind:     global_buffer
      - .address_space:  global
        .offset:         72
        .size:           8
        .value_kind:     global_buffer
      - .address_space:  global
        .offset:         80
        .size:           8
        .value_kind:     global_buffer
      - .offset:         88
        .size:           4
        .value_kind:     by_value
      - .offset:         96
        .size:           4
        .value_kind:     hidden_block_count_x
      - .offset:         100
        .size:           4
        .value_kind:     hidden_block_count_y
      - .offset:         104
        .size:           4
        .value_kind:     hidden_block_count_z
      - .offset:         108
        .size:           2
        .value_kind:     hidden_group_size_x
      - .offset:         110
        .size:           2
        .value_kind:     hidden_group_size_y
      - .offset:         112
        .size:           2
        .value_kind:     hidden_group_size_z
      - .offset:         114
        .size:           2
        .value_kind:     hidden_remainder_x
      - .offset:         116
        .size:           2
        .value_kind:     hidden_remainder_y
      - .offset:         118
        .size:           2
        .value_kind:     hidden_remainder_z
      - .offset:         136
        .size:           8
        .value_kind:     hidden_global_offset_x
      - .offset:         144
        .size:           8
        .value_kind:     hidden_global_offset_y
      - .offset:         152
        .size:           8
        .value_kind:     hidden_global_offset_z
      - .offset:         160
        .size:           2
        .value_kind:     hidden_grid_dims
    .group_segment_fixed_size: 0
    .kernarg_segment_align: 8
    .kernarg_segment_size: 352
    .language:       OpenCL C
    .language_version:
      - 2
      - 0
    .max_flat_workgroup_size: 1024
    .name:           _ZL11fasten_mainILm4EEviiPK4AtomS2_PKfS4_S4_S4_S4_S4_PfPK8FFParamsi
    .private_segment_fixed_size: 208
    .sgpr_count:     69
    .sgpr_spill_count: 0
    .symbol:         _ZL11fasten_mainILm4EEviiPK4AtomS2_PKfS4_S4_S4_S4_S4_PfPK8FFParamsi.kd
    .uniform_work_group_size: 1
    .uses_dynamic_stack: false
    .vgpr_count:     111
    .vgpr_spill_count: 0
    .wavefront_size: 64
  - .agpr_count:     0
    .args:
      - .offset:         0
        .size:           4
        .value_kind:     by_value
      - .offset:         4
        .size:           4
        .value_kind:     by_value
      - .address_space:  global
        .offset:         8
        .size:           8
        .value_kind:     global_buffer
      - .address_space:  global
        .offset:         16
        .size:           8
        .value_kind:     global_buffer
      - .address_space:  global
        .offset:         24
        .size:           8
        .value_kind:     global_buffer
      - .address_space:  global
        .offset:         32
        .size:           8
        .value_kind:     global_buffer
      - .address_space:  global
        .offset:         40
        .size:           8
        .value_kind:     global_buffer
      - .address_space:  global
        .offset:         48
        .size:           8
        .value_kind:     global_buffer
      - .address_space:  global
        .offset:         56
        .size:           8
        .value_kind:     global_buffer
      - .address_space:  global
        .offset:         64
        .size:           8
        .value_kind:     global_buffer
      - .address_space:  global
        .offset:         72
        .size:           8
        .value_kind:     global_buffer
      - .address_space:  global
        .offset:         80
        .size:           8
        .value_kind:     global_buffer
      - .offset:         88
        .size:           4
        .value_kind:     by_value
      - .offset:         96
        .size:           4
        .value_kind:     hidden_block_count_x
      - .offset:         100
        .size:           4
        .value_kind:     hidden_block_count_y
      - .offset:         104
        .size:           4
        .value_kind:     hidden_block_count_z
      - .offset:         108
        .size:           2
        .value_kind:     hidden_group_size_x
      - .offset:         110
        .size:           2
        .value_kind:     hidden_group_size_y
      - .offset:         112
        .size:           2
        .value_kind:     hidden_group_size_z
      - .offset:         114
        .size:           2
        .value_kind:     hidden_remainder_x
      - .offset:         116
        .size:           2
        .value_kind:     hidden_remainder_y
      - .offset:         118
        .size:           2
        .value_kind:     hidden_remainder_z
      - .offset:         136
        .size:           8
        .value_kind:     hidden_global_offset_x
      - .offset:         144
        .size:           8
        .value_kind:     hidden_global_offset_y
      - .offset:         152
        .size:           8
        .value_kind:     hidden_global_offset_z
      - .offset:         160
        .size:           2
        .value_kind:     hidden_grid_dims
    .group_segment_fixed_size: 0
    .kernarg_segment_align: 8
    .kernarg_segment_size: 352
    .language:       OpenCL C
    .language_version:
      - 2
      - 0
    .max_flat_workgroup_size: 1024
    .name:           _ZL11fasten_mainILm8EEviiPK4AtomS2_PKfS4_S4_S4_S4_S4_PfPK8FFParamsi
    .private_segment_fixed_size: 544
    .sgpr_count:     56
    .sgpr_spill_count: 0
    .symbol:         _ZL11fasten_mainILm8EEviiPK4AtomS2_PKfS4_S4_S4_S4_S4_PfPK8FFParamsi.kd
    .uniform_work_group_size: 1
    .uses_dynamic_stack: false
    .vgpr_count:     128
    .vgpr_spill_count: 36
    .wavefront_size: 64
  - .agpr_count:     0
    .args:
      - .offset:         0
        .size:           4
        .value_kind:     by_value
      - .offset:         4
        .size:           4
        .value_kind:     by_value
      - .address_space:  global
        .offset:         8
        .size:           8
        .value_kind:     global_buffer
      - .address_space:  global
        .offset:         16
        .size:           8
        .value_kind:     global_buffer
      - .address_space:  global
        .offset:         24
        .size:           8
        .value_kind:     global_buffer
      - .address_space:  global
        .offset:         32
        .size:           8
        .value_kind:     global_buffer
      - .address_space:  global
        .offset:         40
        .size:           8
        .value_kind:     global_buffer
      - .address_space:  global
        .offset:         48
        .size:           8
        .value_kind:     global_buffer
      - .address_space:  global
        .offset:         56
        .size:           8
        .value_kind:     global_buffer
      - .address_space:  global
        .offset:         64
        .size:           8
        .value_kind:     global_buffer
      - .address_space:  global
        .offset:         72
        .size:           8
        .value_kind:     global_buffer
      - .address_space:  global
        .offset:         80
        .size:           8
        .value_kind:     global_buffer
      - .offset:         88
        .size:           4
        .value_kind:     by_value
      - .offset:         96
        .size:           4
        .value_kind:     hidden_block_count_x
      - .offset:         100
        .size:           4
        .value_kind:     hidden_block_count_y
      - .offset:         104
        .size:           4
        .value_kind:     hidden_block_count_z
      - .offset:         108
        .size:           2
        .value_kind:     hidden_group_size_x
      - .offset:         110
        .size:           2
        .value_kind:     hidden_group_size_y
      - .offset:         112
        .size:           2
        .value_kind:     hidden_group_size_z
      - .offset:         114
        .size:           2
        .value_kind:     hidden_remainder_x
      - .offset:         116
        .size:           2
        .value_kind:     hidden_remainder_y
      - .offset:         118
        .size:           2
        .value_kind:     hidden_remainder_z
      - .offset:         136
        .size:           8
        .value_kind:     hidden_global_offset_x
      - .offset:         144
        .size:           8
        .value_kind:     hidden_global_offset_y
      - .offset:         152
        .size:           8
        .value_kind:     hidden_global_offset_z
      - .offset:         160
        .size:           2
        .value_kind:     hidden_grid_dims
    .group_segment_fixed_size: 0
    .kernarg_segment_align: 8
    .kernarg_segment_size: 352
    .language:       OpenCL C
    .language_version:
      - 2
      - 0
    .max_flat_workgroup_size: 1024
    .name:           _ZL11fasten_mainILm16EEviiPK4AtomS2_PKfS4_S4_S4_S4_S4_PfPK8FFParamsi
    .private_segment_fixed_size: 1440
    .sgpr_count:     56
    .sgpr_spill_count: 0
    .symbol:         _ZL11fasten_mainILm16EEviiPK4AtomS2_PKfS4_S4_S4_S4_S4_PfPK8FFParamsi.kd
    .uniform_work_group_size: 1
    .uses_dynamic_stack: false
    .vgpr_count:     128
    .vgpr_spill_count: 165
    .wavefront_size: 64
  - .agpr_count:     0
    .args:
      - .offset:         0
        .size:           4
        .value_kind:     by_value
      - .offset:         4
        .size:           4
        .value_kind:     by_value
      - .address_space:  global
        .offset:         8
        .size:           8
        .value_kind:     global_buffer
      - .address_space:  global
        .offset:         16
        .size:           8
        .value_kind:     global_buffer
      - .address_space:  global
        .offset:         24
        .size:           8
        .value_kind:     global_buffer
      - .address_space:  global
        .offset:         32
        .size:           8
        .value_kind:     global_buffer
      - .address_space:  global
        .offset:         40
        .size:           8
        .value_kind:     global_buffer
      - .address_space:  global
        .offset:         48
        .size:           8
        .value_kind:     global_buffer
      - .address_space:  global
        .offset:         56
        .size:           8
        .value_kind:     global_buffer
      - .address_space:  global
        .offset:         64
        .size:           8
        .value_kind:     global_buffer
      - .address_space:  global
        .offset:         72
        .size:           8
        .value_kind:     global_buffer
      - .address_space:  global
        .offset:         80
        .size:           8
        .value_kind:     global_buffer
      - .offset:         88
        .size:           4
        .value_kind:     by_value
      - .offset:         96
        .size:           4
        .value_kind:     hidden_block_count_x
      - .offset:         100
        .size:           4
        .value_kind:     hidden_block_count_y
      - .offset:         104
        .size:           4
        .value_kind:     hidden_block_count_z
      - .offset:         108
        .size:           2
        .value_kind:     hidden_group_size_x
      - .offset:         110
        .size:           2
        .value_kind:     hidden_group_size_y
      - .offset:         112
        .size:           2
        .value_kind:     hidden_group_size_z
      - .offset:         114
        .size:           2
        .value_kind:     hidden_remainder_x
      - .offset:         116
        .size:           2
        .value_kind:     hidden_remainder_y
      - .offset:         118
        .size:           2
        .value_kind:     hidden_remainder_z
      - .offset:         136
        .size:           8
        .value_kind:     hidden_global_offset_x
      - .offset:         144
        .size:           8
        .value_kind:     hidden_global_offset_y
      - .offset:         152
        .size:           8
        .value_kind:     hidden_global_offset_z
      - .offset:         160
        .size:           2
        .value_kind:     hidden_grid_dims
    .group_segment_fixed_size: 0
    .kernarg_segment_align: 8
    .kernarg_segment_size: 352
    .language:       OpenCL C
    .language_version:
      - 2
      - 0
    .max_flat_workgroup_size: 1024
    .name:           _ZL11fasten_mainILm32EEviiPK4AtomS2_PKfS4_S4_S4_S4_S4_PfPK8FFParamsi
    .private_segment_fixed_size: 3024
    .sgpr_count:     56
    .sgpr_spill_count: 0
    .symbol:         _ZL11fasten_mainILm32EEviiPK4AtomS2_PKfS4_S4_S4_S4_S4_PfPK8FFParamsi.kd
    .uniform_work_group_size: 1
    .uses_dynamic_stack: false
    .vgpr_count:     128
    .vgpr_spill_count: 340
    .wavefront_size: 64
  - .agpr_count:     0
    .args:
      - .offset:         0
        .size:           4
        .value_kind:     by_value
      - .offset:         4
        .size:           4
        .value_kind:     by_value
      - .address_space:  global
        .offset:         8
        .size:           8
        .value_kind:     global_buffer
      - .address_space:  global
        .offset:         16
        .size:           8
        .value_kind:     global_buffer
      - .address_space:  global
        .offset:         24
        .size:           8
        .value_kind:     global_buffer
      - .address_space:  global
        .offset:         32
        .size:           8
        .value_kind:     global_buffer
      - .address_space:  global
        .offset:         40
        .size:           8
        .value_kind:     global_buffer
      - .address_space:  global
        .offset:         48
        .size:           8
        .value_kind:     global_buffer
      - .address_space:  global
        .offset:         56
        .size:           8
        .value_kind:     global_buffer
      - .address_space:  global
        .offset:         64
        .size:           8
        .value_kind:     global_buffer
      - .address_space:  global
        .offset:         72
        .size:           8
        .value_kind:     global_buffer
      - .address_space:  global
        .offset:         80
        .size:           8
        .value_kind:     global_buffer
      - .offset:         88
        .size:           4
        .value_kind:     by_value
      - .offset:         96
        .size:           4
        .value_kind:     hidden_block_count_x
      - .offset:         100
        .size:           4
        .value_kind:     hidden_block_count_y
      - .offset:         104
        .size:           4
        .value_kind:     hidden_block_count_z
      - .offset:         108
        .size:           2
        .value_kind:     hidden_group_size_x
      - .offset:         110
        .size:           2
        .value_kind:     hidden_group_size_y
      - .offset:         112
        .size:           2
        .value_kind:     hidden_group_size_z
      - .offset:         114
        .size:           2
        .value_kind:     hidden_remainder_x
      - .offset:         116
        .size:           2
        .value_kind:     hidden_remainder_y
      - .offset:         118
        .size:           2
        .value_kind:     hidden_remainder_z
      - .offset:         136
        .size:           8
        .value_kind:     hidden_global_offset_x
      - .offset:         144
        .size:           8
        .value_kind:     hidden_global_offset_y
      - .offset:         152
        .size:           8
        .value_kind:     hidden_global_offset_z
      - .offset:         160
        .size:           2
        .value_kind:     hidden_grid_dims
    .group_segment_fixed_size: 0
    .kernarg_segment_align: 8
    .kernarg_segment_size: 352
    .language:       OpenCL C
    .language_version:
      - 2
      - 0
    .max_flat_workgroup_size: 1024
    .name:           _ZL11fasten_mainILm64EEviiPK4AtomS2_PKfS4_S4_S4_S4_S4_PfPK8FFParamsi
    .private_segment_fixed_size: 5200
    .sgpr_count:     56
    .sgpr_spill_count: 0
    .symbol:         _ZL11fasten_mainILm64EEviiPK4AtomS2_PKfS4_S4_S4_S4_S4_PfPK8FFParamsi.kd
    .uniform_work_group_size: 1
    .uses_dynamic_stack: false
    .vgpr_count:     128
    .vgpr_spill_count: 470
    .wavefront_size: 64
  - .agpr_count:     0
    .args:
      - .offset:         0
        .size:           4
        .value_kind:     by_value
      - .offset:         4
        .size:           4
        .value_kind:     by_value
      - .address_space:  global
        .offset:         8
        .size:           8
        .value_kind:     global_buffer
      - .address_space:  global
        .offset:         16
        .size:           8
        .value_kind:     global_buffer
      - .address_space:  global
        .offset:         24
        .size:           8
        .value_kind:     global_buffer
      - .address_space:  global
        .offset:         32
        .size:           8
        .value_kind:     global_buffer
      - .address_space:  global
        .offset:         40
        .size:           8
        .value_kind:     global_buffer
      - .address_space:  global
        .offset:         48
        .size:           8
        .value_kind:     global_buffer
      - .address_space:  global
        .offset:         56
        .size:           8
        .value_kind:     global_buffer
      - .address_space:  global
        .offset:         64
        .size:           8
        .value_kind:     global_buffer
      - .address_space:  global
        .offset:         72
        .size:           8
        .value_kind:     global_buffer
      - .address_space:  global
        .offset:         80
        .size:           8
        .value_kind:     global_buffer
      - .offset:         88
        .size:           4
        .value_kind:     by_value
      - .offset:         96
        .size:           4
        .value_kind:     hidden_block_count_x
      - .offset:         100
        .size:           4
        .value_kind:     hidden_block_count_y
      - .offset:         104
        .size:           4
        .value_kind:     hidden_block_count_z
      - .offset:         108
        .size:           2
        .value_kind:     hidden_group_size_x
      - .offset:         110
        .size:           2
        .value_kind:     hidden_group_size_y
      - .offset:         112
        .size:           2
        .value_kind:     hidden_group_size_z
      - .offset:         114
        .size:           2
        .value_kind:     hidden_remainder_x
      - .offset:         116
        .size:           2
        .value_kind:     hidden_remainder_y
      - .offset:         118
        .size:           2
        .value_kind:     hidden_remainder_z
      - .offset:         136
        .size:           8
        .value_kind:     hidden_global_offset_x
      - .offset:         144
        .size:           8
        .value_kind:     hidden_global_offset_y
      - .offset:         152
        .size:           8
        .value_kind:     hidden_global_offset_z
      - .offset:         160
        .size:           2
        .value_kind:     hidden_grid_dims
    .group_segment_fixed_size: 0
    .kernarg_segment_align: 8
    .kernarg_segment_size: 352
    .language:       OpenCL C
    .language_version:
      - 2
      - 0
    .max_flat_workgroup_size: 1024
    .name:           _ZL11fasten_mainILm128EEviiPK4AtomS2_PKfS4_S4_S4_S4_S4_PfPK8FFParamsi
    .private_segment_fixed_size: 8208
    .sgpr_count:     56
    .sgpr_spill_count: 0
    .symbol:         _ZL11fasten_mainILm128EEviiPK4AtomS2_PKfS4_S4_S4_S4_S4_PfPK8FFParamsi.kd
    .uniform_work_group_size: 1
    .uses_dynamic_stack: false
    .vgpr_count:     70
    .vgpr_spill_count: 0
    .wavefront_size: 64
amdhsa.target:   amdgcn-amd-amdhsa--gfx90a
amdhsa.version:
  - 1
  - 2
...

	.end_amdgpu_metadata
